;; amdgpu-corpus repo=ROCm/Tensile kind=harvested arch=n/a opt=n/a

/******************************************/
/* Function Prefix                        */
/******************************************/



/******************************************/
/* Begin Kernel                           */
/******************************************/

// Component.Signature.SignatureDefault
.amdgcn_target "amdgcn-amd-amdhsa--gfx942"
.text
.protected Cijk_Ailk_Bjlk_HHS_BH_MT64x64x64_MI32x32x8x1_SN_1LDSB0_APM1_AF0EM1_AF1EM1_AMAS3_ASE_ASGT3128_ASLT_ASM_ASAE01_ASCE01_ASEM1_BL1_BS1_CLR1_DTVA0_DTVB0_ETSP_EPS1_ELFLR0_EMLL0_FSSC10_FL0_GLVWA8_GLVWB8_GRCGA1_GRPM1_GRVW8_GSU1_GSUASB_GLS1_IU1_K1_LBSPPA0_LBSPPB0_LPA0_LPB0_LRVW4_LWPMn1_MIAV0_MKFGSU256_NTA0_NTB0_NTC0_NTD0_NEPBS16_NLCA1_NLCB1_ONLL1_PGR2_PLR5_PKA0_SIA3_SLW1_SS1_SU0_SUM0_SUS0_SPO0_SRVW0_SSO4_SVW2_TSGRA0_TSGRB0_TT2_32_TLDS0_UMLDSA0_UMLDSB0_USFGROn1_VAW1_VSn1_VW2_VWB1_VFLRP1_WSGRA1_WSGRB0_WG32_4_2_WGM30
.globl Cijk_Ailk_Bjlk_HHS_BH_MT64x64x64_MI32x32x8x1_SN_1LDSB0_APM1_AF0EM1_AF1EM1_AMAS3_ASE_ASGT3128_ASLT_ASM_ASAE01_ASCE01_ASEM1_BL1_BS1_CLR1_DTVA0_DTVB0_ETSP_EPS1_ELFLR0_EMLL0_FSSC10_FL0_GLVWA8_GLVWB8_GRCGA1_GRPM1_GRVW8_GSU1_GSUASB_GLS1_IU1_K1_LBSPPA0_LBSPPB0_LPA0_LPB0_LRVW4_LWPMn1_MIAV0_MKFGSU256_NTA0_NTB0_NTC0_NTD0_NEPBS16_NLCA1_NLCB1_ONLL1_PGR2_PLR5_PKA0_SIA3_SLW1_SS1_SU0_SUM0_SUS0_SPO0_SRVW0_SSO4_SVW2_TSGRA0_TSGRB0_TT2_32_TLDS0_UMLDSA0_UMLDSB0_USFGROn1_VAW1_VSn1_VW2_VWB1_VFLRP1_WSGRA1_WSGRB0_WG32_4_2_WGM30
.p2align 8
.type Cijk_Ailk_Bjlk_HHS_BH_MT64x64x64_MI32x32x8x1_SN_1LDSB0_APM1_AF0EM1_AF1EM1_AMAS3_ASE_ASGT3128_ASLT_ASM_ASAE01_ASCE01_ASEM1_BL1_BS1_CLR1_DTVA0_DTVB0_ETSP_EPS1_ELFLR0_EMLL0_FSSC10_FL0_GLVWA8_GLVWB8_GRCGA1_GRPM1_GRVW8_GSU1_GSUASB_GLS1_IU1_K1_LBSPPA0_LBSPPB0_LPA0_LPB0_LRVW4_LWPMn1_MIAV0_MKFGSU256_NTA0_NTB0_NTC0_NTD0_NEPBS16_NLCA1_NLCB1_ONLL1_PGR2_PLR5_PKA0_SIA3_SLW1_SS1_SU0_SUM0_SUS0_SPO0_SRVW0_SSO4_SVW2_TSGRA0_TSGRB0_TT2_32_TLDS0_UMLDSA0_UMLDSB0_USFGROn1_VAW1_VSn1_VW2_VWB1_VFLRP1_WSGRA1_WSGRB0_WG32_4_2_WGM30,@function
.section .rodata,#alloc
.p2align 6
.amdhsa_kernel Cijk_Ailk_Bjlk_HHS_BH_MT64x64x64_MI32x32x8x1_SN_1LDSB0_APM1_AF0EM1_AF1EM1_AMAS3_ASE_ASGT3128_ASLT_ASM_ASAE01_ASCE01_ASEM1_BL1_BS1_CLR1_DTVA0_DTVB0_ETSP_EPS1_ELFLR0_EMLL0_FSSC10_FL0_GLVWA8_GLVWB8_GRCGA1_GRPM1_GRVW8_GSU1_GSUASB_GLS1_IU1_K1_LBSPPA0_LBSPPB0_LPA0_LPB0_LRVW4_LWPMn1_MIAV0_MKFGSU256_NTA0_NTB0_NTC0_NTD0_NEPBS16_NLCA1_NLCB1_ONLL1_PGR2_PLR5_PKA0_SIA3_SLW1_SS1_SU0_SUM0_SUS0_SPO0_SRVW0_SSO4_SVW2_TSGRA0_TSGRB0_TT2_32_TLDS0_UMLDSA0_UMLDSB0_USFGROn1_VAW1_VSn1_VW2_VWB1_VFLRP1_WSGRA1_WSGRB0_WG32_4_2_WGM30
  .amdhsa_user_sgpr_kernarg_segment_ptr 1
  .amdhsa_user_sgpr_kernarg_preload_offset 0
  .amdhsa_user_sgpr_kernarg_preload_length 0
  .amdhsa_user_sgpr_count 2
  .amdhsa_accum_offset 96 // accvgpr offset
  .amdhsa_next_free_vgpr 128 // vgprs
  .amdhsa_next_free_sgpr 62 // sgprs
  .amdhsa_group_segment_fixed_size 32768 // lds bytes
  .amdhsa_private_segment_fixed_size 0
  .amdhsa_system_sgpr_workgroup_id_x 1
  .amdhsa_system_sgpr_workgroup_id_y 1
  .amdhsa_system_sgpr_workgroup_id_z 1
  .amdhsa_system_vgpr_workitem_id 0
  .amdhsa_float_denorm_mode_32 3
  .amdhsa_float_denorm_mode_16_64 3
.end_amdhsa_kernel
.text

/******************************************/
/* Optimizations and Config:              */
/******************************************/
/* ThreadTile= 32 x 1 */
/* SubGroup= 2 x 64 */
/* VectorWidthA=2 */
/* VectorWidthB=1 */
/* GlobalLoadVectorWidthA=8, GlobalLoadVectorWidthB=8 */
/* DirectToLdsA=False */
/* DirectToLdsB=False */
/* UseSgprForGRO=False */
.amdgpu_metadata
---
amdhsa.version:
  - 1
  - 1
amdhsa.target: amdgcn-amd-amdhsa--gfx942
amdhsa.kernels:
  - .name: Cijk_Ailk_Bjlk_HHS_BH_MT64x64x64_MI32x32x8x1_SN_1LDSB0_APM1_AF0EM1_AF1EM1_AMAS3_ASE_ASGT3128_ASLT_ASM_ASAE01_ASCE01_ASEM1_BL1_BS1_CLR1_DTVA0_DTVB0_ETSP_EPS1_ELFLR0_EMLL0_FSSC10_FL0_GLVWA8_GLVWB8_GRCGA1_GRPM1_GRVW8_GSU1_GSUASB_GLS1_IU1_K1_LBSPPA0_LBSPPB0_LPA0_LPB0_LRVW4_LWPMn1_MIAV0_MKFGSU256_NTA0_NTB0_NTC0_NTD0_NEPBS16_NLCA1_NLCB1_ONLL1_PGR2_PLR5_PKA0_SIA3_SLW1_SS1_SU0_SUM0_SUS0_SPO0_SRVW0_SSO4_SVW2_TSGRA0_TSGRB0_TT2_32_TLDS0_UMLDSA0_UMLDSB0_USFGROn1_VAW1_VSn1_VW2_VWB1_VFLRP1_WSGRA1_WSGRB0_WG32_4_2_WGM30
    .symbol: 'Cijk_Ailk_Bjlk_HHS_BH_MT64x64x64_MI32x32x8x1_SN_1LDSB0_APM1_AF0EM1_AF1EM1_AMAS3_ASE_ASGT3128_ASLT_ASM_ASAE01_ASCE01_ASEM1_BL1_BS1_CLR1_DTVA0_DTVB0_ETSP_EPS1_ELFLR0_EMLL0_FSSC10_FL0_GLVWA8_GLVWB8_GRCGA1_GRPM1_GRVW8_GSU1_GSUASB_GLS1_IU1_K1_LBSPPA0_LBSPPB0_LPA0_LPB0_LRVW4_LWPMn1_MIAV0_MKFGSU256_NTA0_NTB0_NTC0_NTD0_NEPBS16_NLCA1_NLCB1_ONLL1_PGR2_PLR5_PKA0_SIA3_SLW1_SS1_SU0_SUM0_SUS0_SPO0_SRVW0_SSO4_SVW2_TSGRA0_TSGRB0_TT2_32_TLDS0_UMLDSA0_UMLDSB0_USFGROn1_VAW1_VSn1_VW2_VWB1_VFLRP1_WSGRA1_WSGRB0_WG32_4_2_WGM30.kd'
    .language:                   OpenCL C
    .language_version:
      - 2
      - 0
    .args:
      - .name:            Tensor2dSizeA
        .size:            8
        .offset:          0
        .value_kind:      by_value
        .value_type:      u64
      - .name:            Tensor2dSizeB
        .size:            8
        .offset:          8
        .value_kind:      by_value
        .value_type:      u64
      - .name:            AddressD
        .size:            8
        .offset:          16
        .value_kind:      by_value
        .value_type:      u64
      - .name:            AddressC
        .size:            8
        .offset:          24
        .value_kind:      by_value
        .value_type:      u64
      - .name:            AddressA
        .size:            8
        .offset:          32
        .value_kind:      by_value
        .value_type:      u64
      - .name:            AddressB
        .size:            8
        .offset:          40
        .value_kind:      by_value
        .value_type:      u64
      - .name:            Alpha
        .size:            4
        .offset:          48
        .value_kind:      by_value
        .value_type:      u32
      - .name:            Beta
        .size:            4
        .offset:          52
        .value_kind:      by_value
        .value_type:      u32
      - .name:            StridesD
        .size:            8
        .offset:          56
        .value_kind:      by_value
        .value_type:      u64
      - .name:            StridesC
        .size:            8
        .offset:          64
        .value_kind:      by_value
        .value_type:      u64
      - .name:            StridesA
        .size:            8
        .offset:          72
        .value_kind:      by_value
        .value_type:      u64
      - .name:            StridesB
        .size:            8
        .offset:          80
        .value_kind:      by_value
        .value_type:      u64
      - .name:            SizesFree
        .size:            12
        .offset:          88
        .value_kind:      by_value
        .value_type:      u96
      - .name:            SizesSum
        .size:            4
        .offset:          100
        .value_kind:      by_value
        .value_type:      u32
      - .name:            NumWorkGroups0
        .size:            4
        .offset:          104
        .value_kind:      by_value
        .value_type:      u32
      - .name:            NumWorkGroups1
        .size:            4
        .offset:          108
        .value_kind:      by_value
        .value_type:      u32
      - .name:            NumFullBlocks
        .size:            4
        .offset:          112
        .value_kind:      by_value
        .value_type:      u32
      - .name:            WgmRemainder1
        .size:            4
        .offset:          116
        .value_kind:      by_value
        .value_type:      u32
      - .name:            MagicNumberWgmRemainder1
        .size:            4
        .offset:          120
        .value_kind:      by_value
        .value_type:      u32
    .group_segment_fixed_size:   32768
    .kernarg_segment_align:      8
    .kernarg_segment_size:       128
    .max_flat_workgroup_size:    256
    .private_segment_fixed_size: 0
    .sgpr_count:                 62
    .sgpr_spill_count:           0
    .vgpr_count:                 94
    .vgpr_spill_count:           0
    .wavefront_size:             64
...
.end_amdgpu_metadata
Cijk_Ailk_Bjlk_HHS_BH_MT64x64x64_MI32x32x8x1_SN_1LDSB0_APM1_AF0EM1_AF1EM1_AMAS3_ASE_ASGT3128_ASLT_ASM_ASAE01_ASCE01_ASEM1_BL1_BS1_CLR1_DTVA0_DTVB0_ETSP_EPS1_ELFLR0_EMLL0_FSSC10_FL0_GLVWA8_GLVWB8_GRCGA1_GRPM1_GRVW8_GSU1_GSUASB_GLS1_IU1_K1_LBSPPA0_LBSPPB0_LPA0_LPB0_LRVW4_LWPMn1_MIAV0_MKFGSU256_NTA0_NTB0_NTC0_NTD0_NEPBS16_NLCA1_NLCB1_ONLL1_PGR2_PLR5_PKA0_SIA3_SLW1_SS1_SU0_SUM0_SUS0_SPO0_SRVW0_SSO4_SVW2_TSGRA0_TSGRB0_TT2_32_TLDS0_UMLDSA0_UMLDSB0_USFGROn1_VAW1_VSn1_VW2_VWB1_VFLRP1_WSGRA1_WSGRB0_WG32_4_2_WGM30:

/******************************************/
/* Asm syntax workarounds                 */
/******************************************/
.macro _v_add_co_u32 dst:req, cc:req, src0:req, src1:req, dpp=
   v_add_co_u32 \dst, \cc, \src0, \src1 \dpp
.endm

.macro _v_add_u32 dst:req, src0:req, src1:req, dpp=
   v_add_u32 \dst, \src0, \src1 \dpp
.endm

.macro _v_add_i32 dst:req, src0:req, src1:req, dpp=
   v_add_i32 \dst, \src0, \src1 \dpp
.endm

.macro _v_addc_co_u32 dst:req, ccOut:req, src0:req, ccIn:req, src1:req, dpp=
   v_addc_co_u32 \dst, \ccOut, \src0, \ccIn, \src1 \dpp
.endm

.macro _v_sub_co_u32 dst:req, cc:req, src0:req, src1:req, dpp=
   v_sub_co_u32 \dst, \cc, \src0, \src1 \dpp
.endm

.macro _v_sub_u32 dst:req, src0:req, src1:req, dpp=
   v_sub_u32 \dst, \src0, \src1 \dpp
.endm

.macro _v_sub_i32 dst:req, src0:req, src1:req, dpp=
   v_sub_i32 \dst, \src0, \src1 \dpp
.endm

.macro _v_add_lshl_u32 dst:req, src0:req, src1:req, shiftCnt:req
    v_add_lshl_u32 \dst, \src0, \src1, \shiftCnt
.endm

.macro _v_lshl_add_u32 dst:req, src0:req, src1:req, shiftCnt:req
    v_lshl_add_u32 \dst, \src0, \src1, \shiftCnt
.endm

.macro _v_lshl_or_b32 dst:req, src0:req, shiftCnt:req, src1:req
    v_lshl_or_b32 \dst, \src0, \shiftCnt, \src1
.endm

.macro _v_dot2acc_f32_f16 dst, src0, src1
v_dot2c_f32_f16 \dst, \src0, \src1
.endm

.macro _v_cmpx_lt_i16 dst, src0, src1=
   v_cmpx_lt_i16 \dst, \src0, \src1 
.endm

.macro _v_cmpx_lt_i32 dst, src0, src1=
   v_cmpx_lt_i32 \dst, \src0, \src1 
.endm

.macro _v_cmpx_lt_i64 dst, src0, src1=
   v_cmpx_lt_i64 \dst, \src0, \src1 
.endm

.macro _v_cmpx_lt_u16 dst, src0, src1=
   v_cmpx_lt_u16 \dst, \src0, \src1 
.endm

.macro _v_cmpx_lt_u32 dst, src0, src1=
   v_cmpx_lt_u32 \dst, \src0, \src1 
.endm

.macro _v_cmpx_lt_u64 dst, src0, src1=
   v_cmpx_lt_u64 \dst, \src0, \src1 
.endm

.macro _v_cmpx_eq_i16 dst, src0, src1=
   v_cmpx_eq_i16 \dst, \src0, \src1 
.endm

.macro _v_cmpx_eq_i32 dst, src0, src1=
   v_cmpx_eq_i32 \dst, \src0, \src1 
.endm

.macro _v_cmpx_eq_i64 dst, src0, src1=
   v_cmpx_eq_i64 \dst, \src0, \src1 
.endm

.macro _v_cmpx_eq_u16 dst, src0, src1=
   v_cmpx_eq_u16 \dst, \src0, \src1 
.endm

.macro _v_cmpx_eq_u32 dst, src0, src1=
   v_cmpx_eq_u32 \dst, \src0, \src1 
.endm

.macro _v_cmpx_eq_u64 dst, src0, src1=
   v_cmpx_eq_u64 \dst, \src0, \src1 
.endm

.macro _v_cmpx_le_i16 dst, src0, src1=
   v_cmpx_le_i16 \dst, \src0, \src1 
.endm

.macro _v_cmpx_le_i32 dst, src0, src1=
   v_cmpx_le_i32 \dst, \src0, \src1 
.endm

.macro _v_cmpx_le_i64 dst, src0, src1=
   v_cmpx_le_i64 \dst, \src0, \src1 
.endm

.macro _v_cmpx_le_u16 dst, src0, src1=
   v_cmpx_le_u16 \dst, \src0, \src1 
.endm

.macro _v_cmpx_le_u32 dst, src0, src1=
   v_cmpx_le_u32 \dst, \src0, \src1 
.endm

.macro _v_cmpx_le_u64 dst, src0, src1=
   v_cmpx_le_u64 \dst, \src0, \src1 
.endm

.macro _v_cmpx_gt_i16 dst, src0, src1=
   v_cmpx_gt_i16 \dst, \src0, \src1 
.endm

.macro _v_cmpx_gt_i32 dst, src0, src1=
   v_cmpx_gt_i32 \dst, \src0, \src1 
.endm

.macro _v_cmpx_gt_i64 dst, src0, src1=
   v_cmpx_gt_i64 \dst, \src0, \src1 
.endm

.macro _v_cmpx_gt_u16 dst, src0, src1=
   v_cmpx_gt_u16 \dst, \src0, \src1 
.endm

.macro _v_cmpx_gt_u32 dst, src0, src1=
   v_cmpx_gt_u32 \dst, \src0, \src1 
.endm

.macro _v_cmpx_gt_u64 dst, src0, src1=
   v_cmpx_gt_u64 \dst, \src0, \src1 
.endm

.macro _v_cmpx_ne_i16 dst, src0, src1=
   v_cmpx_ne_i16 \dst, \src0, \src1 
.endm

.macro _v_cmpx_ne_i32 dst, src0, src1=
   v_cmpx_ne_i32 \dst, \src0, \src1 
.endm

.macro _v_cmpx_ne_i64 dst, src0, src1=
   v_cmpx_ne_i64 \dst, \src0, \src1 
.endm

.macro _v_cmpx_ne_u16 dst, src0, src1=
   v_cmpx_ne_u16 \dst, \src0, \src1 
.endm

.macro _v_cmpx_ne_u32 dst, src0, src1=
   v_cmpx_ne_u32 \dst, \src0, \src1 
.endm

.macro _v_cmpx_ne_u64 dst, src0, src1=
   v_cmpx_ne_u64 \dst, \src0, \src1 
.endm

.macro _v_cmpx_lg_i16 dst, src0, src1=
   v_cmpx_lg_i16 \dst, \src0, \src1 
.endm

.macro _v_cmpx_lg_i32 dst, src0, src1=
   v_cmpx_lg_i32 \dst, \src0, \src1 
.endm

.macro _v_cmpx_lg_i64 dst, src0, src1=
   v_cmpx_lg_i64 \dst, \src0, \src1 
.endm

.macro _v_cmpx_lg_u16 dst, src0, src1=
   v_cmpx_lg_u16 \dst, \src0, \src1 
.endm

.macro _v_cmpx_lg_u32 dst, src0, src1=
   v_cmpx_lg_u32 \dst, \src0, \src1 
.endm

.macro _v_cmpx_lg_u64 dst, src0, src1=
   v_cmpx_lg_u64 \dst, \src0, \src1 
.endm

.macro _v_cmpx_ge_i16 dst, src0, src1=
   v_cmpx_ge_i16 \dst, \src0, \src1 
.endm

.macro _v_cmpx_ge_i32 dst, src0, src1=
   v_cmpx_ge_i32 \dst, \src0, \src1 
.endm

.macro _v_cmpx_ge_i64 dst, src0, src1=
   v_cmpx_ge_i64 \dst, \src0, \src1 
.endm

.macro _v_cmpx_ge_u16 dst, src0, src1=
   v_cmpx_ge_u16 \dst, \src0, \src1 
.endm

.macro _v_cmpx_ge_u32 dst, src0, src1=
   v_cmpx_ge_u32 \dst, \src0, \src1 
.endm

.macro _v_cmpx_ge_u64 dst, src0, src1=
   v_cmpx_ge_u64 \dst, \src0, \src1 
.endm

.macro _v_cmpx_o_i16 dst, src0, src1=
   v_cmpx_o_i16 \dst, \src0, \src1 
.endm

.macro _v_cmpx_o_i32 dst, src0, src1=
   v_cmpx_o_i32 \dst, \src0, \src1 
.endm

.macro _v_cmpx_o_i64 dst, src0, src1=
   v_cmpx_o_i64 \dst, \src0, \src1 
.endm

.macro _v_cmpx_o_u16 dst, src0, src1=
   v_cmpx_o_u16 \dst, \src0, \src1 
.endm

.macro _v_cmpx_o_u32 dst, src0, src1=
   v_cmpx_o_u32 \dst, \src0, \src1 
.endm

.macro _v_cmpx_o_u64 dst, src0, src1=
   v_cmpx_o_u64 \dst, \src0, \src1 
.endm

.macro _v_cmpx_u_i16 dst, src0, src1=
   v_cmpx_u_i16 \dst, \src0, \src1 
.endm

.macro _v_cmpx_u_i32 dst, src0, src1=
   v_cmpx_u_i32 \dst, \src0, \src1 
.endm

.macro _v_cmpx_u_i64 dst, src0, src1=
   v_cmpx_u_i64 \dst, \src0, \src1 
.endm

.macro _v_cmpx_u_u16 dst, src0, src1=
   v_cmpx_u_u16 \dst, \src0, \src1 
.endm

.macro _v_cmpx_u_u32 dst, src0, src1=
   v_cmpx_u_u32 \dst, \src0, \src1 
.endm

.macro _v_cmpx_u_u64 dst, src0, src1=
   v_cmpx_u_u64 \dst, \src0, \src1 
.endm
.macro _v_mac_f32 c:req, a:req, b:req
    v_fmac_f32 \c, \a, \b
.endmacro

/* scale global load macros */
.macro _s_load_b32 dst base offset
    s_load_dword \dst \base \offset
.endm

.macro _s_load_b64 dst base offset
    s_load_dwordx2 \dst \base \offset
.endm

.macro _s_load_b128 dst base offset
    s_load_dwordx4 \dst \base \offset
.endm

.macro _s_load_b256 dst base offset
    s_load_dwordx8 \dst \base \offset
.endm

.macro _s_load_b512 dst base offset
    s_load_dwordx16 \dst \base \offset
.endm


/* ds operation macros */
.macro _ds_load_u8 dst src offset
    ds_read_u8 \dst \src \offset
.endm

.macro _ds_load_u8_d16_hi dst src offset
    ds_read_u8_d16_hi \dst \src \offset
.endm

.macro _ds_load_u16 dst src offset
    ds_read_u16 \dst \src \offset
.endm

.macro _ds_load_u16_d16_hi dst src offset
    ds_read_u16_d16_hi \dst \src \offset
.endm

.macro _ds_load_b32 dst src offset
    ds_read_b32 \dst \src \offset
.endm

.macro _ds_load_b64 dst src offset
    ds_read_b64 \dst \src \offset
.endm

.macro _ds_load_b128 dst src offset
    ds_read_b128 \dst \src \offset
.endm

.macro _ds_store_b8 dst src offset
    ds_write_b8 \dst \src \offset
.endm

.macro _ds_store_b8_d16_hi dst src offset
    ds_write_b8_d16_hi \dst \src \offset
.endm

.macro _ds_store_b16 dst src offset
    ds_write_b16 \dst \src \offset
.endm

.macro _ds_store_b16_d16_hi dst src offset
    ds_write_b16_d16_hi \dst \src \offset
.endm

.macro _ds_store_b32 dst src offset
    ds_write_b32 \dst \src \offset
.endm

.macro _ds_store_b64 dst src offset
    ds_write_b64 \dst \src \offset
.endm

.macro _ds_store_b128 dst src offset
    ds_write_b128 \dst \src \offset
.endm

.macro _ds_load2_b32 dst src offset1 offset2
    ds_read2_b32 \dst \src \offset1 \offset2
.endm

.macro _ds_load2_b64 dst src offset1 offset2
    ds_read2_b64 \dst \src \offset1 \offset2
.endm

.macro _ds_store2_b32 dst src offset1 offset2
    ds_write2_b32 \dst \src \offset1 \offset2
.endm

.macro _ds_store2_b64 dst src offset1 offset2
    ds_write2_b64 \dst \src \offset1 \offset2
.endm


/* buffer memory operation macros */
.macro _buffer_load_b32 dst voffset base soffset offen ioffset md0 md1 md2
    buffer_load_dword \dst \voffset \base \soffset \offen \ioffset \md0 \md1 \md2
.endm

.macro _buffer_load_b64 dst voffset base soffset offen ioffset md0 md1 md2
    buffer_load_dwordx2 \dst \voffset \base \soffset \offen \ioffset \md0 \md1 \md2
.endm

.macro _buffer_load_b96 dst voffset base soffset offen ioffset md0 md1 md2
    buffer_load_dwordx3 \dst \voffset \base \soffset \offen \ioffset \md0 \md1 \md2
.endm

.macro _buffer_load_b128 dst voffset base soffset offen ioffset md0 md1 md2
    buffer_load_dwordx4 \dst \voffset \base \soffset \offen \ioffset \md0 \md1 \md2
.endm

.macro _buffer_load_d16_b16 dst voffset base soffset offen ioffset md0 md1 md2
    buffer_load_short_d16 \dst \voffset \base \soffset \offen \ioffset \md0 \md1 \md2
.endm

.macro _buffer_load_d16_hi_b16 dst voffset base soffset offen ioffset md0 md1 md2
    buffer_load_short_d16_hi \dst \voffset \base \soffset \offen \ioffset \md0 \md1 \md2
.endm

.macro _buffer_load_d16_u8 dst voffset base soffset offen ioffset md0 md1 md2
    buffer_load_ubyte_d16 \dst \voffset \base \soffset \offen \ioffset \md0 \md1 \md2
.endm

.macro _buffer_load_d16_hi_u8 dst voffset base soffset offen ioffset md0 md1 md2
    buffer_load_ubyte_d16_hi \dst \voffset \base \soffset \offen \ioffset \md0 \md1 \md2
.endm

.macro _buffer_load_u16 dst voffset base soffset offen ioffset md0 md1 md2
    buffer_load_ushort \dst \voffset \base \soffset \offen \ioffset \md0 \md1 \md2
.endm

.macro _buffer_load_b32_dtl voffset base soffset offen ioffset md0 md1 md2
    buffer_load_dword \voffset \base \soffset \offen \ioffset \md0 \md1 \md2
.endm

.macro _buffer_load_b64_dtl voffset base soffset offen ioffset md0 md1 md2
    buffer_load_dwordx2 \voffset \base \soffset \offen \ioffset \md0 \md1 \md2
.endm

.macro _buffer_load_b128_dtl voffset base soffset offen ioffset md0 md1 md2
    buffer_load_dwordx4 \voffset \base \soffset \offen \ioffset \md0 \md1 \md2
.endm

.macro _buffer_load_u16_dtl voffset base soffset offen ioffset md0 md1 md2
    buffer_load_ushort \voffset \base \soffset \offen \ioffset \md0 \md1 \md2
.endm

.macro _buffer_store_b32 src voffset base soffset offen ioffset md0 md1 md2
    buffer_store_dword \src \voffset \base \soffset \offen \ioffset \md0 \md1 \md2
.endm

.macro _buffer_store_b64 src voffset base soffset offen ioffset md0 md1 md2
    buffer_store_dwordx2 \src \voffset \base \soffset \offen \ioffset \md0 \md1 \md2
.endm

.macro _buffer_store_b96 src voffset base soffset offen ioffset md0 md1 md2
    buffer_store_dwordx3 \src \voffset \base \soffset \offen \ioffset \md0 \md1 \md2
.endm

.macro _buffer_store_b128 src voffset base soffset offen ioffset md0 md1 md2
    buffer_store_dwordx4 \src \voffset \base \soffset \offen \ioffset \md0 \md1 \md2
.endm

.macro _buffer_store_b16 src voffset base soffset offen ioffset md0 md1 md2
    buffer_store_short \src \voffset \base \soffset \offen \ioffset \md0 \md1 \md2
.endm

.macro _buffer_store_d16_hi_b16 src voffset base soffset offen ioffset md0 md1 md2
    buffer_store_short_d16_hi \src \voffset \base \soffset \offen \ioffset \md0 \md1 \md2
.endm

.macro _buffer_store_b8 src voffset base soffset offen ioffset md0 md1 md2
    buffer_store_byte \src \voffset \base \soffset \offen \ioffset \md0 \md1 \md2
.endm

.macro _buffer_store_d16_hi_b8 src voffset base soffset offen ioffset md0 md1 md2
    buffer_store_byte_d16_hi \src \voffset \base \soffset \offen \ioffset \md0 \md1 \md2
.endm

.macro _buffer_atomic_cmpswap_b32 dst voffset base soffset offen ioffset md0 md1 md2
    buffer_atomic_cmpswap \dst \voffset \base \soffset \offen \ioffset \md0 \md1 \md2
.endm

.macro _buffer_atomic_cmpswap_b64 dst voffset base soffset offen ioffset md0 md1 md2
    buffer_atomic_cmpswap_x2 \dst \voffset \base \soffset \offen \ioffset \md0 \md1 \md2
.endm


/* buffer memory operation macros */
.macro _global_load_b32 dst base src ioffset md0 md1 md2
    global_load_dword \dst \base \src \ioffset \md0 \md1 \md2
.endm

.macro _global_load_b64 dst base src ioffset md0 md1 md2
    global_load_dwordx2 \dst \base \src \ioffset \md0 \md1 \md2
.endm

.macro _global_load_b96 dst base src ioffset md0 md1 md2
    global_load_dwordx3 \dst \base \src \ioffset \md0 \md1 \md2
.endm

.macro _global_load_b128 dst base src ioffset md0 md1 md2
    global_load_dwordx4 \dst \base \src \ioffset \md0 \md1 \md2
.endm

.macro _global_load_d16_b16 dst base src ioffset md0 md1 md2
    global_load_short_d16 \dst \base \src \ioffset \md0 \md1 \md2
.endm

.macro _global_load_d16_hi_b16 dst base src ioffset md0 md1 md2
    global_load_short_d16_hi \dst \base \src \ioffset \md0 \md1 \md2
.endm

.macro _global_load_d16_u8 dst base src ioffset md0 md1 md2
    global_load_ubyte_d16 \dst \base \src \ioffset \md0 \md1 \md2
.endm

.macro _global_load_d16_hi_u8 dst base src ioffset md0 md1 md2
    global_load_ubyte_d16_hi \dst \base \src \ioffset \md0 \md1 \md2
.endm

.macro _global_load_u16 dst base src ioffset md0 md1 md2
    global_load_ushort \dst \base \src \ioffset \md0 \md1 \md2
.endm

.macro _global_store_b32 base src src2 md0 md1 md2
    global_store_dword \base \src \src2 \md0 \md1 \md2
.endm

.macro _global_store_b64 base src src2 md0 md1 md2
    global_store_dwordx2 \base \src \src2 \md0 \md1 \md2
.endm

.macro _global_store_b96 base src src2 md0 md1 md2
    global_store_dwordx3 \base \src \src2 \md0 \md1 \md2
.endm

.macro _global_store_b128 base src src2 md0 md1 md2
    global_store_dwordx4 \base \src \src2 \md0 \md1 \md2
.endm

.macro _global_store_d16_b16 base src src2 md0 md1 md2
    global_store_short \base \src \src2 \md0 \md1 \md2
.endm

.macro _global_store_d16_hi_b16 base src src2 md0 md1 md2
    global_store_short_d16_hi \base \src \src2 \md0 \md1 \md2
.endm

.macro _global_store_d16_u8 base src src2 md0 md1 md2
    global_store_ubyte_d16 \base \src \src2 \md0 \md1 \md2
.endm

.macro _global_store_d16_hi_u8 base src src2 md0 md1 md2
    global_store_ubyte_d16_hi \base \src \src2 \md0 \md1 \md2
.endm

.macro _global_store_u16 base src src2 md0 md1 md2
    global_store_ushort \base \src \src2 \md0 \md1 \md2
.endm

.macro _global_atomic_cmpswap_b32 tmp base data src ioffset md
    global_atomic_cmpswap \tmp \base \data \src \ioffset \md
.endm

.macro _global_atomic_cmpswap_b64 tmp base data src ioffset md
    global_atomic_cmpswap_x2 \tmp \base \data \src \ioffset \md
.endm


/******************************************/
/* Magic div and mod functions            */
/******************************************/
.macro V_MAGIC_DIV dstIdx:req, dividend:req, magicNumber:req, magicShift:req, magicA:req
    v_mul_hi_u32 v[\dstIdx+1], \dividend, \magicNumber
    v_mul_lo_u32 v[\dstIdx+0], \dividend, \magicA
    _v_add_u32 v[\dstIdx+0], v[\dstIdx+0], v[\dstIdx+1]
    v_lshrrev_b32 v[\dstIdx+0], \magicShift, v[\dstIdx+0]
.endm

/******************************************/
/* VGPR Assignments                       */
/******************************************/
/* ValuC range: [0-32),  */
.set vgprValuC, 0
/* ValuA/B   Xn=PLR buffer idx,  In=InnerUnroll idx */
.set vgprValuA_X0_I0, 32
.set vgprValuA_X1_I0, 32
.set vgprValuA_X2_I0, 32
.set vgprValuA_X3_I0, 32
.set vgprValuA_X0_I0_D0, 36
.set vgprValuA_X0_I0_D1, 37
.set vgprValuA_X0_I0_D2, 38
.set vgprValuA_X0_I0_D3, 39
.set vgprValuA_X1_I0_D0, 40
.set vgprValuA_X1_I0_D1, 41
.set vgprValuA_X1_I0_D2, 42
.set vgprValuA_X1_I0_D3, 43
.set vgprValuA_X2_I0_D0, 44
.set vgprValuA_X2_I0_D1, 45
.set vgprValuA_X2_I0_D2, 46
.set vgprValuA_X2_I0_D3, 47
.set vgprValuA_X3_I0_D0, 48
.set vgprValuA_X3_I0_D1, 49
.set vgprValuA_X3_I0_D2, 50
.set vgprValuA_X3_I0_D3, 51
.set vgprG2LA, 74
.set vgprValuB_X0_I0, 52
.set vgprValuB_X1_I0, 54
.set vgprValuB_X2_I0, 56
.set vgprValuB_X3_I0, 58
.set vgprValuB_X0_I0_D1, 60
.set vgprValuB_X1_I0_D1, 62
.set vgprValuB_X2_I0_D1, 64
.set vgprValuB_X3_I0_D1, 66
.set vgprG2LB, 82
.set vgprLocalWriteAddrA, 68
.set vgprLocalWriteAddrB, 69
.set vgprGlobalReadOffsetA, 70
.set vgprGlobalReadOffsetB, 72
.set vgprLocalReadAddrA, 90
.set vgprLocalReadAddrB, 91
.set vgprSerial, 92
/* Num VGPR=94 */
/* Num AccVGPR=32 */

/******************************************/
/* SGPR Assignments                       */
/******************************************/
.set sgprKernArgAddress, 0 // (2)
.set sgprWorkGroup0, 2 // (1)
.set sgprWorkGroup1, 3 // (1)
.set sgprWorkGroup2, 4 // (1)
.set sgprLoopCounterL, 5 // (1)
.set sgprOrigLoopCounter, 6 // (1)
.set sgprSrdA, 8 // (4)
.set sgprSrdB, 12 // (4)
.set sgprSrdD, 16 // (4)
.set sgprSrdC, 20 // (4)
.set sgprTensor2dSizeA, 24 // (2)
.set sgprTensor2dSizeB, 26 // (2)
.set sgprAddressD, 28 // (2)
.set sgprAddressC, 30 // (2)
.set sgprAddressA, 32 // (2)
.set sgprAddressB, 34 // (2)
.set sgprAlpha, 36 // (1)
.set sgprBeta, 37 // (1)
.set sgprStridesD, 38 // (2)
.set sgprStridesC, 40 // (2)
.set sgprStridesA, 42 // (2)
.set sgprStridesB, 44 // (2)
.set sgprSizesFree, 46 // (3)
.set sgprSizesSum, 49 // (1)
.set sgprNumWorkGroups0, 50 // (1)
.set sgprNumWorkGroups1, 51 // (1)
.set sgprNumFullBlocks, 52 // (1)
.set sgprWgmRemainder1, 53 // (1)
.set sgprMagicNumberWgmRemainder1, 54 // (1)
.set sgprShadowLimitA, 0 // (2)
.set sgprShadowLimitB, 28 // (2)
.set sgprGlobalReadIncsA, 7 // (1)
.set sgprGlobalReadIncsB, 30 // (1)
.set sgprPackKForV0, 31 // (1)
.set sgprPackKForV1, 32 // (1)
/* max SGPR=62 */

/* Size Assignments */
.set sgprSizeI, sgprSizesFree+0
.set sgprSizeJ, sgprSizesFree+1
.set sgprSizeK, sgprSizesFree+2
.set sgprSizeL, sgprSizesSum+0

/* Stride Assignments */
.set constStrideD0I, 1
.set sgprStrideD1J, sgprStridesD+0
.set sgprStrideDK, sgprStridesD+1
.set constStrideC0I, 1
.set sgprStrideC1J, sgprStridesC+0
.set sgprStrideCK, sgprStridesC+1
.set constStrideA0I, 1
.set sgprStrideAL, sgprStridesA+0
.set sgprStrideAK, sgprStridesA+1
.set constStrideB1J, 1
.set sgprStrideBL, sgprStridesB+0
.set sgprStrideBK, sgprStridesB+1

.set MT0, 64
.set MT1, 64
.set DepthU, 64
.set GSU, 1
.set BpeA, 2
.set BpeALog2, 1
.set BpeB, 2
.set BpeBLog2, 1
/* Number of elements to shift-left SRD */
.set SrdShiftLeftA, 8
.set SrdShiftLeftB, 8
/* 2GB limit - set offsets to -1 to exceed this and clamp */
.set BufferLimitA, 0xffffffff
.set BufferLimitB, 0xffffffff
.set BufferOOB, 0xfffff000

/******************************************/
/* Bits 127:96 of SRD.                    */
/* hex: 0x00020000                        */
/* dst_sel_x (3b): 0                      */
/* dst_sel_y (3b): 0                      */
/* dst_sel_z (3b): 0                      */
/* dst_sel_w (3b): 0                      */
/* num_format (3b): 0                     */
/* data_format (4b): 4                    */
/* user_vm_enable (1b): 0                 */
/* user_vm_mode (1b): 0                   */
/* index_stride (2b): 0                   */
/* add_tid_enable (1b): 0                 */
/* _unusedA (3b): 0                       */
/* nv (1b): 0                             */
/* _unusedB (2b): 0                       */
/* type (2b): 0                           */
/******************************************/
.set Srd127_96, 0x00020000

/* Global Offset A */
.macro GLOBAL_OFFSET_A vgprAddr:req vgprOffset0I:req vgprOffsetL:req vgprTmp:req
v_mul_lo_u32 v[\vgprTmp+0], s[sgprStrideAL], v[\vgprOffsetL] // mul d1 lower
_v_add_co_u32 v[\vgprAddr+0], vcc, v[\vgprOffset0I], v[\vgprTmp+0] // accumulate K lower
_v_add_u32 v[\vgprAddr+0], 0x8, v[\vgprAddr+0]     // add prepad for pointer shift
v_lshlrev_b32 v[\vgprAddr+0], 0x1, v[\vgprAddr+0]  // offset *= bytes/element
.endm

/* Global Offset B */
.macro GLOBAL_OFFSET_B vgprAddr:req vgprOffset1J:req vgprOffsetL:req vgprTmp:req
v_mul_lo_u32 v[\vgprTmp+0], s[sgprStrideBL], v[\vgprOffsetL] // mul d1 lower
_v_add_co_u32 v[\vgprAddr+0], vcc, v[\vgprOffset1J], v[\vgprTmp+0] // accumulate K lower
_v_add_u32 v[\vgprAddr+0], 0x8, v[\vgprAddr+0]     // add prepad for pointer shift
v_lshlrev_b32 v[\vgprAddr+0], 0x1, v[\vgprAddr+0]  // offset *= bytes/element
.endm

/******************************************/
/* Dynamic Scalar Divide: vQuotient=vDividend/vDivisor; vRemainder=vDividend%vDivisor; */
/******************************************/
.macro DYNAMIC_VECTOR_DIVIDE vQuotient vRemainder vDividend vDivisor vTmp0 vTmp1 sTmp
v_cvt_f32_u32 v[\vQuotient], v[\vDivisor]          // 
v_rcp_f32 v[\vQuotient], v[\vQuotient]             // 
v_mul_f32 v[\vQuotient], 0x4f800000, v[\vQuotient] // 
v_cvt_u32_f32 v[\vQuotient], v[\vQuotient]         // 
v_mul_lo_u32 v[\vRemainder], v[\vDivisor], v[\vQuotient] // 
v_mul_hi_u32 v[\vTmp0], v[\vDivisor], v[\vQuotient] // 
_v_sub_co_u32 v[\vTmp1], vcc, 0x0, v[\vRemainder]  // 
v_cmp_ne_i32 s[\sTmp:\sTmp+1], 0x0, v[\vTmp0]      // 
v_cndmask_b32 v[\vRemainder], v[\vTmp1], v[\vRemainder], s[\sTmp:\sTmp+1] // 
v_mul_hi_u32 v[\vRemainder], v[\vRemainder], v[\vQuotient] // 
_v_sub_co_u32 v[\vTmp0], vcc, v[\vQuotient], v[\vRemainder] // 
_v_add_co_u32 v[\vQuotient], vcc, v[\vQuotient], v[\vRemainder] // 
v_cndmask_b32 v[\vQuotient], v[\vQuotient], v[\vTmp0], s[\sTmp:\sTmp+1] // 
v_mul_hi_u32 v[\vQuotient], v[\vQuotient], v[\vDividend] // 
v_mul_lo_u32 v[\vRemainder], v[\vQuotient], v[\vDivisor] // 
_v_sub_co_u32 v[\vTmp0], vcc, v[\vDividend], v[\vRemainder] // 
v_cmp_ge_u32 s[\sTmp:\sTmp+1], v[\vDividend], v[\vRemainder] // 
_v_add_co_u32 v[\vRemainder], vcc, 0x1, v[\vQuotient] // 
_v_add_co_u32 v[\vTmp1], vcc, -1, v[\vQuotient]    // 
v_cmp_le_u32 vcc, v[\vDivisor], v[\vTmp0]          // 
s_and_b64 vcc, s[\sTmp:\sTmp+1], vcc               // 
v_cndmask_b32 v[\vQuotient], v[\vQuotient], v[\vRemainder], vcc // 
v_cndmask_b32 v[\vQuotient], v[\vTmp1], v[\vQuotient], s[\sTmp:\sTmp+1] // 
v_cmp_ne_i32 vcc, 0x0, v[\vDivisor]                // 
v_cndmask_b32 v[\vQuotient], -1, v[\vQuotient], vcc // final result
v_mul_lo_u32 v[\vRemainder], v[\vQuotient], v[\vDivisor] // 
_v_sub_co_u32 v[\vRemainder], vcc, v[\vDividend], v[\vRemainder] // final result
.endm


	;; [unrolled: 1-line block ×3, first 2 shown]
/******************************************/
/* Allocate Resources                     */
/******************************************/

Cijk_Ailk_Bjlk_HHS_BH_MT64x64x64_MI32x32x8x1_SN_1LDSB0_APM1_AF0EM1_AF1EM1_AMAS3_ASE_ASGT3128_ASLT_ASM_ASAE01_ASCE01_ASEM1_BL1_BS1_CLR1_DTVA0_DTVB0_ETSP_EPS1_ELFLR0_EMLL0_FSSC10_FL0_GLVWA8_GLVWB8_GRCGA1_GRPM1_GRVW8_GSU1_GSUASB_GLS1_IU1_K1_LBSPPA0_LBSPPB0_LPA0_LPB0_LRVW4_LWPMn1_MIAV0_MKFGSU256_NTA0_NTB0_NTC0_NTD0_NEPBS16_NLCA1_NLCB1_ONLL1_PGR2_PLR5_PKA0_SIA3_SLW1_SS1_SU0_SUM0_SUS0_SPO0_SRVW0_SSO4_SVW2_TSGRA0_TSGRB0_TT2_32_TLDS0_UMLDSA0_UMLDSB0_USFGROn1_VAW1_VSn1_VW2_VWB1_VFLRP1_WSGRA1_WSGRB0_WG32_4_2_WGM30_preloaded: // Kernel start when preloading

/* Load Kernel Args */
_s_load_b512 s[24:39], s[sgprKernArgAddress:sgprKernArgAddress+1], 0x0 // 
_s_load_b256 s[40:47], s[sgprKernArgAddress:sgprKernArgAddress+1], 0x40 // 
_s_load_b128 s[48:51], s[sgprKernArgAddress:sgprKernArgAddress+1], 0x60 // 
_s_load_b64 s[52:53], s[sgprKernArgAddress:sgprKernArgAddress+1], 0x70 // 
_s_load_b32 s54, s[sgprKernArgAddress:sgprKernArgAddress+1], 0x78 // 
s_mov_b32 m0, 0x8000                               // LDS clamp at 32768 bytes
v_mov_b32 v[vgprSerial], v0                        // thread serial id

/******************************************/
/* Local Read Addresses                   */
/******************************************/


/* local read addresses: tile assignments a/b */

/*lr0I*/
v_and_b32 v1, 63, v[vgprSerial]                    // 0. thread id in wave: wtid = tid % wavelength(64)
v_and_b32 v0, 31, v1                               // 1. N offset: nIdx = wtid % MI_N(32)
                                                   // 1. N offset: nOffset = nIdx * nStride(1) (multiplier is 1, do nothing)
                                                   // 2. block offset: bnIdx = bnIdx % num1DBlocks(1) is 0. do nothing
v_lshlrev_b32 v0, 0x1, v0                          // 4. apply VectorWidth: bnOffset = bnOffset * vw(2)
v_lshrrev_b32 v1, 5, v1                            // 5. K offset: kIdx = wtid / (MIN(32) * MIBB(1))
v_lshlrev_b32 v1, 0x8, v1                          // 5. K offset: lrKOffset = kIdx * mStride(256)
_v_add_u32 v0, v1, v0                              // 6. offset in wave: lrOffset = bnOffset + lrKOffset
v_lshrrev_b32 v1, 7, v[vgprSerial]                 // LSU offset: sgid = Serial / subGroup(128)
v_lshlrev_b32 v1, 0x9, v1                          // LSU offset: lsuOffset = sgid * kInterval(2) *  strideK(256)
_v_add_u32 v0, v1, v0                              // LSU offset: lrOffset += lsuOffset
/*lr1J*/
v_and_b32 v2, 63, v[vgprSerial]                    // 0. thread id in wave: wtid = tid % wavelength(64)
v_and_b32 v1, 31, v2                               // 1. N offset: nIdx = wtid % MI_N(32)
                                                   // 1. N offset: nOffset = nIdx * nStride(1) (multiplier is 1, do nothing)
                                                   // 2. block offset: bnIdx = bnIdx % num1DBlocks(1) is 0. do nothing
                                                   // 4. apply VectorWidth: bnOffset = bnOffset * vw(1) (multiplier is 1, do nothing)
v_lshrrev_b32 v2, 5, v2                            // 5. K offset: kIdx = wtid / (MIN(32) * MIBB(1))
v_lshlrev_b32 v2, 0x8, v2                          // 5. K offset: lrKOffset = kIdx * mStride(256)
_v_add_u32 v1, v2, v1                              // 6. offset in wave: lrOffset = bnOffset + lrKOffset
v_lshrrev_b32 v3, 6, v[vgprSerial]                 // 7. wave offset in N dimen: wtid = tid / dividedForWaveId(64)
v_and_b32 v2, 1, v3                                // 7. wave offset in M dimen: wtid0 = wtid / num1DWaves(2)
v_lshlrev_b32 v2, 0x5, v2                          // 7. wave offset in M dimen: wOffset = wtid0 * W0Stride(32)
_v_add_u32 v1, v2, v1                              // 8. final local read offset: flrOffset = lrOffset + WOffset
v_lshrrev_b32 v2, 7, v[vgprSerial]                 // LSU offset: sgid = Serial / subGroup(128)
v_lshlrev_b32 v2, 0x9, v2                          // LSU offset: lsuOffset = sgid * kInterval(2) *  strideK(256)
_v_add_u32 v1, v2, v1                              // LSU offset: lrOffset += lsuOffset


/* local read addresses: final offsets a */

v_lshlrev_b32 v[vgprLocalReadAddrA], 0x1, v0       // Final Offset: offset = (lro0)*bpe


/* local read addresses: final offsets b */

v_lshlrev_b32 v[vgprLocalReadAddrB], 0x1, v1       // Final Offset: offset = (lro1)*bpe


/* local read addresses: declare addresses a */

/* N/A */


/* local read addresses: declare addresses b */

_v_add_co_u32 v[vgprLocalReadAddrB+0], vcc, 0x2000, v[vgprLocalReadAddrB+0] //  += LdsOffsetB (lower)


/* global read addresses: tile offset assignment a */

/* LVCA = 8 */
/* v0 = (local)groA-tile = serial%LVCA (note (wgA*MTA) will be added to SRD) */
/* v1 = groA-unroll = serial/LVCA */
v_and_b32 v2, 63, v[vgprSerial]                    // v2 = v[vgprSerial] % 64
v_lshrrev_b32 v1, 3, v2                            // v1 = v2 / 8
v_and_b32 v0, 7, v2                                // v0 = v2 % 8
v_readfirstlane_b32 s56, v[vgprSerial]             // WaveIdxWavefrontWidth
s_lshr_b32 s56, s56, 0x6                           // WaveId
s_mul_i32 s56, s56, 16                             // Global Read Wave: each wave loads continuous lsp(8)*nrp(2) columns
_v_add_u32 v1, s56, v1                             // Global Read Wave: add back to column index
/* gro-tile *= glvw */
v_lshlrev_b32 v0, 0x3, v0                          // v0 = v0 * 8


/* global read addresses: tile offset assignment b */

/* LVCB = 8 */
/* v2 = (local)groB-tile = serial%LVCB (note (wgB*MTB) will be added to SRD) */
/* v3 = groB-unroll = serial/LVCB */
v_lshrrev_b32 v3, 3, v[vgprSerial]                 // v3 = v[vgprSerial] / 8
v_and_b32 v2, 7, v[vgprSerial]                     // v2 = v[vgprSerial] % 8
/* gro-tile *= glvw */
v_lshlrev_b32 v2, 0x3, v2                          // v2 = v2 * 8


/******************************************/
/* Local Write Addresses                  */
/******************************************/

/* lwaTileAssignmentA = v0 */

/* lwaTileAssignmentB = v2 */

/* lwaUnrollAssignmentA = v1 */

/* lwaUnrollAssignmentB = v3 */


/* local write addresses: first offset a */

v_mul_u32_u24 v[vgprLocalWriteAddrA], 0x40, v1     // lwAL**(MTA + PAD)
_v_add_lshl_u32 v[vgprLocalWriteAddrA], v0, v[vgprLocalWriteAddrA], 0x1 // lwFOA = (lwAA + lwAL*(MT0I+PAD))*bpe


/* local write addresses: first offset b */

v_mul_u32_u24 v[vgprLocalWriteAddrB], 0x40, v3     // lwBL**(MTB + PAD)
_v_add_lshl_u32 v[vgprLocalWriteAddrB], v2, v[vgprLocalWriteAddrB], 0x1 // lwFOB = (lwBB + lwBL*(MT1J+PAD))*bpe
_v_add_co_u32 v[vgprLocalWriteAddrB], vcc, 0x2000, v[vgprLocalWriteAddrB] // lwFOB = lwB1J + lwBL*MT1J + LDS_OFFSET_B=4096*2


	;; [unrolled: 1-line block ×7, first 2 shown]
s_waitcnt lgkmcnt(0)                               // wait for 124 bytes of kern args
s_mov_b64 s[sgprSrdC+0:sgprSrdC+0+1], s[sgprAddressC+0:sgprAddressC+0+1] // copy addressC
s_mov_b64 s[sgprSrdD+0:sgprSrdD+0+1], s[sgprAddressD+0:sgprAddressD+0+1] // copy addressD
s_sub_u32 s[sgprSrdA+0], s[sgprAddressA+0], 16     // pre-pad to make room for possible pointer shift
s_subb_u32 s[sgprSrdA+1], s[sgprAddressA+1], 0     // pre-pad to make room for possible pointer shift
s_sub_u32 s[sgprSrdB+0], s[sgprAddressB+0], 16     // pre-pad to make room for possible pointer shift
s_subb_u32 s[sgprSrdB+1], s[sgprAddressB+1], 0     // pre-pad to make room for possible pointer shift

.set AddressD, UNDEF
.set AddressC, UNDEF
.set AddressA, UNDEF
.set AddressB, UNDEF

/* Short circuit condition if Alpha == 0, then sumDims=0 */
v_cmp_eq_f32 vcc, s[sgprAlpha], 0.0                // Alpha == 0.0f ?
s_cbranch_vccz label_AlphaNonZero                  // branch if alpha != 0
s_mov_b32 s[sgprSizesSum+0], 0x0                   // Set summation dim=0 if Alpha == 0
label_AlphaNonZero:
s_mov_b32 s[sgprPackKForV0], 0x05040100            // half pack value 0 for v_perm_b32
s_mov_b32 s[sgprPackKForV1], 0x07060302            // half pack value 1 for v_perm_b32


	;; [unrolled: 1-line block ×3, first 2 shown]
/******************************************/
/* Begin setupNewTile, isPap=False           */
/******************************************/


/* global read addresses: work-group */

/* graWorkGroup mapping */
s_mov_b32 s61, 0x4444445L                          // magic number for WGM==30
s_mul_hi_u32 s59, s[sgprWorkGroup1], s61           // s_magic mul
s_mul_i32 s58, s[sgprWorkGroup1], s61              // s_magic mul
s_lshr_b64 s[58:59], s[58:59], 31                  // sMagicDiv
s_mul_i32 s59, s58, 30                             // quotient * non-magic divisor
s_sub_u32 s59, s[sgprWorkGroup1], s59              // WorkGroup1=remainder
s_mul_i32 s59, s59, s[sgprNumWorkGroups0]          // (wg1 % WGM)*nwg0
s_add_u32 s59, s59, s[sgprWorkGroup0]              // wgSerial = wg0 + (wg1 % WGM)*nwg1
s_cmp_ge_u32 s58, s[sgprNumFullBlocks]             // blockId >= numFullBlocks ?
s_cmov_b32 s61, s[sgprMagicNumberWgmRemainder1]    // 
s_cselect_b32 s60, s[sgprWgmRemainder1], 30        // 
s_mul_hi_u32 s3, s59, s61                          // s_magic mul
s_mul_i32 s2, s59, s61                             // s_magic mul
s_lshr_b64 s[2:3], s[2:3], 31                      // sMagicDiv
s_mul_i32 s[sgprWorkGroup1], s[sgprWorkGroup0], s60 // quotient * non-magic divisor
s_sub_u32 s[sgprWorkGroup1], s59, s[sgprWorkGroup1] // WorkGroup1=remainder
s_mul_i32 s58, s58, 30                             // blockId * WGM
s_add_u32 s[sgprWorkGroup1], s[sgprWorkGroup1], s58 // wg1 += blockId * WGM


/* global read addresses: unroll assignment a */

/* v1 */


/* global read addresses: unroll assignment b */

/* v3 */


/* global read addresses: other free assignments */

/* s[sgprWorkGroup2] */


/* global read addresses: tile offsets a */

v_mov_b32 v4, v0                                   // groA0I_0


/* global read addresses: tile offsets b */

v_mov_b32 v5, v2                                   // groB1J_0


/* global read addresses: unroll offsets a */

v_mov_b32 v6, v1                                   // groAL_0
_v_add_co_u32 v7, vcc, 8, v6                       // groAL_1 + LSPA


/* global read addresses: unroll offsets b */

v_mov_b32 v8, v3                                   // groBL_0
_v_add_co_u32 v9, vcc, 32, v8                      // groBL_1 + LSPB


/* global read addresses: shift a */

s_mul_i32 s33, s[sgprWorkGroup0], 64               // WorkGroup[01] * MT
s_sub_u32 s33, s[sgprSizeI], s33                   // edge = Size0I - WG*MT
s_sub_u32 s33, s33, 8                              // edge -= margin(8)
v_mov_b32 v10, s33                                 // edge vgpr = Size0I- WG*MT - margin(8)
v_min_i32 v4, v10, v4                              // offset = (offset < edge) ? offset(v4) : edge(v10)


/* global read addresses: shift b */

s_mul_i32 s33, s[sgprWorkGroup1], 64               // WorkGroup[01] * MT
s_sub_u32 s33, s[sgprSizeJ], s33                   // edge = Size1J - WG*MT
s_sub_u32 s33, s33, 8                              // edge -= margin(8)
v_mov_b32 v10, s33                                 // edge vgpr = Size1J- WG*MT - margin(8)
v_min_i32 v5, v10, v5                              // offset = (offset < edge) ? offset(v5) : edge(v10)


/* global read addresses: final offsets a */

GLOBAL_OFFSET_A vgprGlobalReadOffsetA+0,  4,  6, 10 // gROA_0_0_0_0
GLOBAL_OFFSET_A vgprGlobalReadOffsetA+1,  4,  7, 10 // gROA_0_0_1_0


/* global read addresses: final offsets b */

GLOBAL_OFFSET_B vgprGlobalReadOffsetB+0,  5,  8, 10 // gROB_0_0_0_0
GLOBAL_OFFSET_B vgprGlobalReadOffsetB+1,  5,  9, 10 // gROB_0_0_1_0


/* global read addresses: addresses a */

/* max read offset = size[n] * stride[n-1] */
s_mul_hi_u32 s59, s[sgprWorkGroup0], 64            // WorkGroup[01] * MT
s_mul_i32 s58, s[sgprWorkGroup0], 64               // WorkGroup[01] * MT
s_sub_u32 s[sgprShadowLimitA+0], s[sgprTensor2dSizeA], s58 // sub tileStart
s_subb_u32 s[sgprShadowLimitA+1], s[sgprTensor2dSizeA+1], s59 // sub tileStart
s_lshl_b64 s[sgprShadowLimitA:sgprShadowLimitA+1], s[sgprShadowLimitA:sgprShadowLimitA+1], 0x1 // Set limit to use bytes
s_add_u32 s[sgprShadowLimitA+0], s[sgprShadowLimitA+0], 16 // extend limit for pre-pad
s_addc_u32 s[sgprShadowLimitA+1], s[sgprShadowLimitA+1], 0 // extend limit for pre-pad
s_cmp_eq_u32 s[sgprShadowLimitA+1], 0              // are we within 2^32?
s_cselect_b32 s[sgprSrdA+2], s[sgprShadowLimitA+0], BufferLimitA // Move shadow to real if we are within 2^32
s_mul_hi_u32 s35, s[sgprStrideAK], s[sgprWorkGroup2] // Stride*WG
s_mul_i32 s34, s[sgprStrideAK], s[sgprWorkGroup2]  // Stride*WG
s_add_u32 s58, s58, s34                            // accum wg term to tilestart
s_addc_u32 s59, s59, s35                           // accum wg term to tilestart
s_lshl_b64 s[58:59], s[58:59], 0x1                 // tileStart *= BPE
s_add_u32 s[sgprSrdA+0], s[sgprSrdA+0], s58        // SRD base = Address+ tileStart0
s_addc_u32 s[sgprSrdA+1], s[sgprSrdA+1], s59       // SRD base = Address+ tileStart1
s_mov_b32 s[sgprSrdA+3], Srd127_96                 // Set bits 127_96 in SRD


/* global read addresses: addresses b */

/* max read offset = size[n] * stride[n-1] */
s_mul_hi_u32 s59, s[sgprWorkGroup1], 64            // WorkGroup[01] * MT
s_mul_i32 s58, s[sgprWorkGroup1], 64               // WorkGroup[01] * MT
s_sub_u32 s[sgprShadowLimitB+0], s[sgprTensor2dSizeB], s58 // sub tileStart
s_subb_u32 s[sgprShadowLimitB+1], s[sgprTensor2dSizeB+1], s59 // sub tileStart
s_lshl_b64 s[sgprShadowLimitB:sgprShadowLimitB+1], s[sgprShadowLimitB:sgprShadowLimitB+1], 0x1 // Set limit to use bytes
s_add_u32 s[sgprShadowLimitB+0], s[sgprShadowLimitB+0], 16 // extend limit for pre-pad
s_addc_u32 s[sgprShadowLimitB+1], s[sgprShadowLimitB+1], 0 // extend limit for pre-pad
s_cmp_eq_u32 s[sgprShadowLimitB+1], 0              // are we within 2^32?
s_cselect_b32 s[sgprSrdB+2], s[sgprShadowLimitB+0], BufferLimitB // Move shadow to real if we are within 2^32
s_mul_hi_u32 s35, s[sgprStrideBK], s[sgprWorkGroup2] // Stride*WG
s_mul_i32 s34, s[sgprStrideBK], s[sgprWorkGroup2]  // Stride*WG
s_add_u32 s58, s58, s34                            // accum wg term to tilestart
s_addc_u32 s59, s59, s35                           // accum wg term to tilestart
s_lshl_b64 s[58:59], s[58:59], 0x1                 // tileStart *= BPE
s_add_u32 s[sgprSrdB+0], s[sgprSrdB+0], s58        // SRD base = Address+ tileStart0
s_addc_u32 s[sgprSrdB+1], s[sgprSrdB+1], s59       // SRD base = Address+ tileStart1
s_mov_b32 s[sgprSrdB+3], Srd127_96                 // Set bits 127_96 in SRD


/* global read addresses: increments a */

s_mul_i32 s[sgprGlobalReadIncsA+0], DepthU*BpeA, s[sgprStrideAL] // incrA unrollIdx)


/* global read addresses: increments b */

s_mul_i32 s[sgprGlobalReadIncsB+0], DepthU*BpeB, s[sgprStrideBL] // incrB unrollIdx)

/* declare loop num iterations */


s_lshr_b32 s[sgprLoopCounterL], s[sgprSizesSum+0], 6 // s[sgprLoopCounterL] = s[sgprSizesSum+0] / 64
s_mov_b32 s[sgprOrigLoopCounter], s[sgprLoopCounterL] // copy loop counter

/* local read addresses: init pointers a */


/* localReadInitPointers */

/* local read addresses: init pointers b */


/* localReadInitPointers */


/* prefetch: global -> local */

s_cmp_eq_u32 s[sgprLoopCounterL], 0                // at last iteration?
s_cbranch_scc1 ShadowInitStart_10                  // skip to ShadowInitStart iter b/c numIter==0


_buffer_load_b128 v[vgprG2LA+0:vgprG2LA+0+3], v[vgprGlobalReadOffsetA+0], s[sgprSrdA:sgprSrdA+3], 0, offen offset:0 // G -> Reg 0_0_0_0
_buffer_load_b128 v[vgprG2LA+4:vgprG2LA+4+3], v[vgprGlobalReadOffsetA+1], s[sgprSrdA:sgprSrdA+3], 0, offen offset:0 // G -> Reg 0_0_1_0


_buffer_load_b128 v[vgprG2LB+0:vgprG2LB+0+3], v[vgprGlobalReadOffsetB+0], s[sgprSrdB:sgprSrdB+3], 0, offen offset:0 // G -> Reg 0_0_0_0
_buffer_load_b128 v[vgprG2LB+4:vgprG2LB+4+3], v[vgprGlobalReadOffsetB+1], s[sgprSrdB:sgprSrdB+3], 0, offen offset:0 // G -> Reg 0_0_1_0


/* global read inc A loopL */
s_add_u32 s[sgprSrdA+0], s[sgprSrdA+0], s[sgprGlobalReadIncsA+0] // gra SRD += inc(lower)
s_addc_u32  s[sgprSrdA+1], s[sgprSrdA+1], 0        // gra SRD += inc(upper)
s_sub_u32 s[sgprShadowLimitA+0], s[sgprShadowLimitA+0], s[sgprGlobalReadIncsA+0] // limit -= inc)
s_subb_u32 s[sgprShadowLimitA+1], s[sgprShadowLimitA+1], 0 // limit -= inc)
s_cmp_eq_u32 s[sgprShadowLimitA+1], 0              // are we within 2^32?
s_cmov_b32 s[sgprSrdA+2], s[sgprShadowLimitA+0]    // Move shadow to real if we are within 2^32

/* global read inc B loopL */
s_add_u32 s[sgprSrdB+0], s[sgprSrdB+0], s[sgprGlobalReadIncsB+0] // gra SRD += inc(lower)
s_addc_u32  s[sgprSrdB+1], s[sgprSrdB+1], 0        // gra SRD += inc(upper)
s_sub_u32 s[sgprShadowLimitB+0], s[sgprShadowLimitB+0], s[sgprGlobalReadIncsB+0] // limit -= inc)
s_subb_u32 s[sgprShadowLimitB+1], s[sgprShadowLimitB+1], 0 // limit -= inc)
s_cmp_eq_u32 s[sgprShadowLimitB+1], 0              // are we within 2^32?
s_cmov_b32 s[sgprSrdB+2], s[sgprShadowLimitB+0]    // Move shadow to real if we are within 2^32


/******************************************/
/* End setupNewTile, isPap=False             */
/******************************************/

ShadowInitStart_10: // 

s_mov_b32 s[sgprSrdD+2], BufferOOB                 // 
s_mov_b32 s[sgprSrdD+3], Srd127_96                 // Set bits 127_96 in post-loop SRD

s_mov_b32 s[sgprSrdC+2], BufferOOB                 // 
s_mov_b32 s[sgprSrdC+3], Srd127_96                 // Set bits 127_96 in post-loop SRD


s_mul_i32 s58, MT1, s[sgprWorkGroup1]              // <- wg1*MT1
s_mul_hi_u32 s57, s58, s[sgprStrideC1J]            // CScale s58 by Stride
s_mul_i32 s56, s58, s[sgprStrideC1J]               // CScale s58 by Stride
s_lshl_b64 s[56:57], s[56:57], 1                   // scale by bpe
s_add_u32 s[sgprSrdC+0], s[sgprSrdC+0], s56        // add lo to SRD
s_addc_u32 s[sgprSrdC+1], s[sgprSrdC+1], s57       // add hi to SRD
s_mul_hi_u32 s57, s58, s[sgprStrideD1J]            // Scale s58 by Stride
s_mul_i32 s56, s58, s[sgprStrideD1J]               // Scale s58 by Stride
s_lshl_b64 s[56:57], s[56:57], 1                   // scale by bpe
s_add_u32 s[sgprSrdD+0], s[sgprSrdD+0], s56        // add lo to SRD
s_addc_u32 s[sgprSrdD+1], s[sgprSrdD+1], s57       // add hi to SRD

s_mul_hi_u32 s57, s[sgprWorkGroup2], s[sgprStrideCK] // CScale s[sgprWorkGroup2] by Stride
s_mul_i32 s56, s[sgprWorkGroup2], s[sgprStrideCK]  // CScale s[sgprWorkGroup2] by Stride
s_lshl_b64 s[56:57], s[56:57], 1                   // scale by bpe
s_add_u32 s[sgprSrdC+0], s[sgprSrdC+0], s56        // add lo to SRD
s_addc_u32 s[sgprSrdC+1], s[sgprSrdC+1], s57       // add hi to SRD
s_mul_hi_u32 s57, s[sgprWorkGroup2], s[sgprStrideDK] // Scale s[sgprWorkGroup2] by Stride
s_mul_i32 s56, s[sgprWorkGroup2], s[sgprStrideDK]  // Scale s[sgprWorkGroup2] by Stride
s_lshl_b64 s[56:57], s[56:57], 1                   // scale by bpe
s_add_u32 s[sgprSrdD+0], s[sgprSrdD+0], s56        // add lo to SRD
s_addc_u32 s[sgprSrdD+1], s[sgprSrdD+1], s57       // add hi to SRD


	;; [unrolled: 1-line block ×3, first 2 shown]
/* initC: remove C-tile 0-32 from pool */

/* initC: remove AB-tile 32-68 from pool */
v_accvgpr_write acc0, 0x0                          // initC
v_accvgpr_write acc1, 0x0                          // initC
v_accvgpr_write acc2, 0x0                          // initC
v_accvgpr_write acc3, 0x0                          // initC
v_accvgpr_write acc4, 0x0                          // initC
v_accvgpr_write acc5, 0x0                          // initC
v_accvgpr_write acc6, 0x0                          // initC
v_accvgpr_write acc7, 0x0                          // initC
v_accvgpr_write acc8, 0x0                          // initC
v_accvgpr_write acc9, 0x0                          // initC
v_accvgpr_write acc10, 0x0                         // initC
v_accvgpr_write acc11, 0x0                         // initC
v_accvgpr_write acc12, 0x0                         // initC
v_accvgpr_write acc13, 0x0                         // initC
v_accvgpr_write acc14, 0x0                         // initC
v_accvgpr_write acc15, 0x0                         // initC
v_accvgpr_write acc16, 0x0                         // initC
v_accvgpr_write acc17, 0x0                         // initC
v_accvgpr_write acc18, 0x0                         // initC
v_accvgpr_write acc19, 0x0                         // initC
v_accvgpr_write acc20, 0x0                         // initC
v_accvgpr_write acc21, 0x0                         // initC
v_accvgpr_write acc22, 0x0                         // initC
v_accvgpr_write acc23, 0x0                         // initC
v_accvgpr_write acc24, 0x0                         // initC
v_accvgpr_write acc25, 0x0                         // initC
v_accvgpr_write acc26, 0x0                         // initC
v_accvgpr_write acc27, 0x0                         // initC
v_accvgpr_write acc28, 0x0                         // initC
v_accvgpr_write acc29, 0x0                         // initC
v_accvgpr_write acc30, 0x0                         // initC
v_accvgpr_write acc31, 0x0                         // initC

s_cmp_eq_u32 s[sgprLoopCounterL], 0                // at last iteration?

/* after InitC, skip to end of prefetch last iter if numIter==0 */
s_cbranch_scc0 label_NoBranch_11                   // Only branch on scc1
s_getpc_B64 s[56:57]                               // addr of next instr
s_add_i32 s58, PrefetchGlobalLastIterEnd_5, 0x4    // target branch offset
s_add_u32 s56, s56, s58                            // add target branch offset
s_addc_u32 s57, s57, 0                             // add high and carry
s_setpc_b64 s[56:57]                               // branch to PrefetchGlobalLastIterEnd_5
label_NoBranch_11:

s_waitcnt vmcnt(0)                                 // lgkmcnt=-1 vmcnt=0 8wait for global read


/* local write a */
_ds_store_b128 v[vgprLocalWriteAddrA], v[vgprG2LA+0:vgprG2LA+0+3] offset:0 // lwoA_0_0_0_0 = (0*LSCA) + (0*LSPA)(*MT0I+PAD) = 0
_ds_store_b128 v[vgprLocalWriteAddrA], v[vgprG2LA+4:vgprG2LA+4+3] offset:1024 // lwoA_0_0_1_0 = (0*LSCA) + (1*LSPA)(*MT0I+PAD) = 1024

/* local write b */
_ds_store_b128 v[vgprLocalWriteAddrB], v[vgprG2LB+0:vgprG2LB+0+3] offset:0 // lwoB_0_0_0_0 = (0*LSCB) + (0*LSPB)(*MT1J+PAD) = 0
_ds_store_b128 v[vgprLocalWriteAddrB], v[vgprG2LB+4:vgprG2LB+4+3] offset:4096 // lwoB_0_0_1_0 = (0*LSCB) + (1*LSPB)(*MT1J+PAD) = 4096


/* local write swap a */


/* (EPS=1) local write swap internal offset -> 16384 */


/* local write swap b */


/* (EPS=1) local write swap internal offset -> 16384 */


	;; [unrolled: 1-line block ×3, first 2 shown]
s_cmp_eq_u32 s[sgprLoopCounterL] 0x1               // PGR=2 but only 1 loop
s_cbranch_scc1 label_0012                          // PGR=2 but only 1 loop


_buffer_load_b128 v[vgprG2LA+0:vgprG2LA+0+3], v[vgprGlobalReadOffsetA+0], s[sgprSrdA:sgprSrdA+3], 0, offen offset:0 // G -> Reg 0_0_0_0
_buffer_load_b128 v[vgprG2LA+4:vgprG2LA+4+3], v[vgprGlobalReadOffsetA+1], s[sgprSrdA:sgprSrdA+3], 0, offen offset:0 // G -> Reg 0_0_1_0


_buffer_load_b128 v[vgprG2LB+0:vgprG2LB+0+3], v[vgprGlobalReadOffsetB+0], s[sgprSrdB:sgprSrdB+3], 0, offen offset:0 // G -> Reg 0_0_0_0
_buffer_load_b128 v[vgprG2LB+4:vgprG2LB+4+3], v[vgprGlobalReadOffsetB+1], s[sgprSrdB:sgprSrdB+3], 0, offen offset:0 // G -> Reg 0_0_1_0

label_0012:                                        // 

s_waitcnt lgkmcnt(0)                               // lgkmcnt=0 vmcnt=-10prefetch wait for local write

// Skip force waitcnt0
s_barrier //


/* local read prefetch a */

_ds_load_b32 v[vgprValuA_X0_I0_D0+0], v[vgprLocalReadAddrA] offset:0 // L -> Reg lro=0 swapByteOffset=0 ti=64 vIdx=0 rIdx=0 oIdx=0 buffer=0 iui=0
_ds_load_b32 v[vgprValuA_X0_I0_D1+0], v[vgprLocalReadAddrA] offset:128 // L -> Reg lro=0 swapByteOffset=0 ti=64 vIdx=0 rIdx=1 oIdx=0 buffer=0 iui=0
_ds_load_b32 v[vgprValuA_X0_I0_D2+0], v[vgprLocalReadAddrA] offset:256 // L -> Reg lro=0 swapByteOffset=0 ti=64 vIdx=0 rIdx=2 oIdx=0 buffer=0 iui=0
_ds_load_b32 v[vgprValuA_X0_I0_D3+0], v[vgprLocalReadAddrA] offset:384 // L -> Reg lro=0 swapByteOffset=0 ti=64 vIdx=0 rIdx=3 oIdx=0 buffer=0 iui=0


/* local read prefetch b */

_ds_load_u16 v[vgprValuB_X0_I0+0], v[vgprLocalReadAddrB] offset:0 // L -> Reg lro=0 swapByteOffset=0 ti=64 vIdx=0 rIdx=0 oIdx=0 buffer=0 iui=0
_ds_load_u16_d16_hi v[vgprValuB_X0_I0_D1+0], v[vgprLocalReadAddrB] offset:128 // L -> Reg lro=0 swapByteOffset=0 ti=64 vIdx=0 rIdx=1 oIdx=0 buffer=0 iui=0
_ds_load_u16 v[vgprValuB_X0_I0+1], v[vgprLocalReadAddrB] offset:256 // L -> Reg lro=0 swapByteOffset=0 ti=64 vIdx=0 rIdx=2 oIdx=0 buffer=0 iui=0
_ds_load_u16_d16_hi v[vgprValuB_X0_I0_D1+1], v[vgprLocalReadAddrB] offset:384 // L -> Reg lro=0 swapByteOffset=0 ti=64 vIdx=0 rIdx=3 oIdx=0 buffer=0 iui=0


/* local read inc a */

/* N/A, lro->1024 */
/* self.localReadDoCntA 1 self.localReadDoCntB 1 */


/* local read inc b */

/* N/A, lro->1024 */
/* self.localReadDoCntA 1 self.localReadDoCntB 1 */


	;; [unrolled: 1-line block ×3, first 2 shown]
/******************************************/
/* Unrolled Loop(s) - Begin               */
/******************************************/

openLoopL_13:
s_cmp_eq_u32 s[sgprLoopCounterL], 0x1              // LoopCounterL < EndCounter
s_cbranch_scc1 label_0014                          // PGR=2 but only 1 loop, toPGR1
s_cmp_le_u32 s[sgprLoopCounterL], 0x2              // LoopCounterL < EndCounter
s_cbranch_scc1 LoopEndL_evenexit_4                 // do not enter LoopL
LoopBeginL_1:


/******************************************/
/* Unrolled Loop 1/2 - Begin              */
/******************************************/

label_0015: // LoopCopy1 


/* Begin Each Unroll: Check VGPR.checkin for INT8 LW */


	;; [unrolled: 1-line block ×3, first 2 shown]
/* iter 0 */

/*  grEndMfmaIndex:4, lwStartMfmaIndex:4, lwEndMfmaIndex:4  */
/*  numMfmaForLR:1, barrierMfmaIndex:6, LocalWritePerMfma:4.000 */
/*  mfmaIndex:0  */
s_waitcnt lgkmcnt(0)                               // lgkmcnt=0 vmcnt=-1wait for prior local read local write old=0, new=0 newLW=0 newLR=0
/* pack scheduling: packAIdx:2, packBIdx:2 */
v_perm_b32 v[vgprValuA_X0_I0+0], v[vgprValuA_X0_I0_D1+0], v[vgprValuA_X0_I0_D0+0], s[sgprPackKForV0] // select K=01 for vector=0
v_perm_b32 v[vgprValuA_X0_I0+1], v[vgprValuA_X0_I0_D3+0], v[vgprValuA_X0_I0_D2+0], s[sgprPackKForV0] // select K=23 for vector=0
v_or_b32 v[vgprValuB_X0_I0+0], v[vgprValuB_X0_I0+0], v[vgprValuB_X0_I0_D1+0] // pack two half Vgpr to one Vgpr
v_or_b32 v[vgprValuB_X0_I0+1], v[vgprValuB_X0_I0+1], v[vgprValuB_X0_I0_D1+1] // pack two half Vgpr to one Vgpr
v_perm_b32 v[vgprValuA_X0_I0+2], v[vgprValuA_X0_I0_D1+0], v[vgprValuA_X0_I0_D0+0], s[sgprPackKForV1] // select K=01 for vector=1
v_perm_b32 v[vgprValuA_X0_I0+3], v[vgprValuA_X0_I0_D3+0], v[vgprValuA_X0_I0_D2+0], s[sgprPackKForV1] // select K=23 for vector=1
v_mfma_f32_32x32x8_f16 a[0+0:15+0], v[vgprValuB_X0_I0+0+0+0:vgprValuB_X0_I0+0+0+0+1], v[vgprValuA_X0_I0+0+0+0:vgprValuA_X0_I0+0+0+0+1], a[0:15]
/*  mfmaIndex:1  */
_ds_load_b32 v[vgprValuA_X1_I0_D0+0], v[vgprLocalReadAddrA] offset:2048 // L -> Reg lro=1024 swapByteOffset=0 ti=64 vIdx=0 rIdx=0 oIdx=0 buffer=1 iui=0
_ds_load_b32 v[vgprValuA_X1_I0_D1+0], v[vgprLocalReadAddrA] offset:2176 // L -> Reg lro=1024 swapByteOffset=0 ti=64 vIdx=0 rIdx=1 oIdx=0 buffer=1 iui=0
_ds_load_b32 v[vgprValuA_X1_I0_D2+0], v[vgprLocalReadAddrA] offset:2304 // L -> Reg lro=1024 swapByteOffset=0 ti=64 vIdx=0 rIdx=2 oIdx=0 buffer=1 iui=0
_ds_load_b32 v[vgprValuA_X1_I0_D3+0], v[vgprLocalReadAddrA] offset:2432 // L -> Reg lro=1024 swapByteOffset=0 ti=64 vIdx=0 rIdx=3 oIdx=0 buffer=1 iui=0
_ds_load_u16 v[vgprValuB_X1_I0+0], v[vgprLocalReadAddrB] offset:2048 // L -> Reg lro=1024 swapByteOffset=0 ti=64 vIdx=0 rIdx=0 oIdx=0 buffer=1 iui=0
_ds_load_u16_d16_hi v[vgprValuB_X1_I0_D1+0], v[vgprLocalReadAddrB] offset:2176 // L -> Reg lro=1024 swapByteOffset=0 ti=64 vIdx=0 rIdx=1 oIdx=0 buffer=1 iui=0
_ds_load_u16 v[vgprValuB_X1_I0+1], v[vgprLocalReadAddrB] offset:2304 // L -> Reg lro=1024 swapByteOffset=0 ti=64 vIdx=0 rIdx=2 oIdx=0 buffer=1 iui=0
_ds_load_u16_d16_hi v[vgprValuB_X1_I0_D1+1], v[vgprLocalReadAddrB] offset:2432 // L -> Reg lro=1024 swapByteOffset=0 ti=64 vIdx=0 rIdx=3 oIdx=0 buffer=1 iui=0

/* global read inc A loopL */
s_add_u32 s[sgprSrdA+0], s[sgprSrdA+0], s[sgprGlobalReadIncsA+0] // gra SRD += inc(lower)
s_addc_u32  s[sgprSrdA+1], s[sgprSrdA+1], 0        // gra SRD += inc(upper)
s_sub_u32 s[sgprShadowLimitA+0], s[sgprShadowLimitA+0], s[sgprGlobalReadIncsA+0] // limit -= inc)
v_mfma_f32_32x32x8_f16 a[16+0:31+0], v[vgprValuB_X0_I0+0+0+0:vgprValuB_X0_I0+0+0+0+1], v[vgprValuA_X0_I0+2+0+0:vgprValuA_X0_I0+2+0+0+1], a[16:31]
/* numPrefetchIter=0 */
/* dataAtIterA=-1 numReadsIterA=1 skipReadsIterA=1 readsPerIterA=4 */
/* dataAtIterB=-1 numReadsIterB=1 skipReadsIterB=1 readsPerIterB=4 */


/* iter 1 */

/*  grEndMfmaIndex:4, lwStartMfmaIndex:4, lwEndMfmaIndex:4  */
/*  numMfmaForLR:1, barrierMfmaIndex:6, LocalWritePerMfma:4.000 */
/*  mfmaIndex:2  */
_ds_load_b32 v[vgprValuA_X2_I0_D0+0], v[vgprLocalReadAddrA] offset:4096 // L -> Reg lro=2048 swapByteOffset=0 ti=64 vIdx=0 rIdx=0 oIdx=0 buffer=2 iui=0
_ds_load_b32 v[vgprValuA_X2_I0_D1+0], v[vgprLocalReadAddrA] offset:4224 // L -> Reg lro=2048 swapByteOffset=0 ti=64 vIdx=0 rIdx=1 oIdx=0 buffer=2 iui=0
_ds_load_b32 v[vgprValuA_X2_I0_D2+0], v[vgprLocalReadAddrA] offset:4352 // L -> Reg lro=2048 swapByteOffset=0 ti=64 vIdx=0 rIdx=2 oIdx=0 buffer=2 iui=0
_ds_load_b32 v[vgprValuA_X2_I0_D3+0], v[vgprLocalReadAddrA] offset:4480 // L -> Reg lro=2048 swapByteOffset=0 ti=64 vIdx=0 rIdx=3 oIdx=0 buffer=2 iui=0
s_subb_u32 s[sgprShadowLimitA+1], s[sgprShadowLimitA+1], 0 // limit -= inc)
s_cmp_eq_u32 s[sgprShadowLimitA+1], 0              // are we within 2^32?
s_cmov_b32 s[sgprSrdA+2], s[sgprShadowLimitA+0]    // Move shadow to real if we are within 2^32
s_waitcnt lgkmcnt(4)                               // lgkmcnt=0 vmcnt=-1wait for prior local read local write old=0, new=4 newLW=0 newLR=4
/* pack scheduling: packAIdx:2, packBIdx:2 */
v_perm_b32 v[vgprValuA_X1_I0+0], v[vgprValuA_X1_I0_D1+0], v[vgprValuA_X1_I0_D0+0], s[sgprPackKForV0] // select K=01 for vector=0
v_perm_b32 v[vgprValuA_X1_I0+1], v[vgprValuA_X1_I0_D3+0], v[vgprValuA_X1_I0_D2+0], s[sgprPackKForV0] // select K=23 for vector=0
v_or_b32 v[vgprValuB_X1_I0+0], v[vgprValuB_X1_I0+0], v[vgprValuB_X1_I0_D1+0] // pack two half Vgpr to one Vgpr
v_or_b32 v[vgprValuB_X1_I0+1], v[vgprValuB_X1_I0+1], v[vgprValuB_X1_I0_D1+1] // pack two half Vgpr to one Vgpr
v_perm_b32 v[vgprValuA_X1_I0+2], v[vgprValuA_X1_I0_D1+0], v[vgprValuA_X1_I0_D0+0], s[sgprPackKForV1] // select K=01 for vector=1
v_perm_b32 v[vgprValuA_X1_I0+3], v[vgprValuA_X1_I0_D3+0], v[vgprValuA_X1_I0_D2+0], s[sgprPackKForV1] // select K=23 for vector=1
v_mfma_f32_32x32x8_f16 a[0+0:15+0], v[vgprValuB_X1_I0+0+0+0:vgprValuB_X1_I0+0+0+0+1], v[vgprValuA_X1_I0+0+0+0:vgprValuA_X1_I0+0+0+0+1], a[0:15]
/*  mfmaIndex:3  */
_ds_load_u16 v[vgprValuB_X2_I0+0], v[vgprLocalReadAddrB] offset:4096 // L -> Reg lro=2048 swapByteOffset=0 ti=64 vIdx=0 rIdx=0 oIdx=0 buffer=2 iui=0
_ds_load_u16_d16_hi v[vgprValuB_X2_I0_D1+0], v[vgprLocalReadAddrB] offset:4224 // L -> Reg lro=2048 swapByteOffset=0 ti=64 vIdx=0 rIdx=1 oIdx=0 buffer=2 iui=0
_ds_load_u16 v[vgprValuB_X2_I0+1], v[vgprLocalReadAddrB] offset:4352 // L -> Reg lro=2048 swapByteOffset=0 ti=64 vIdx=0 rIdx=2 oIdx=0 buffer=2 iui=0
_ds_load_u16_d16_hi v[vgprValuB_X2_I0_D1+1], v[vgprLocalReadAddrB] offset:4480 // L -> Reg lro=2048 swapByteOffset=0 ti=64 vIdx=0 rIdx=3 oIdx=0 buffer=2 iui=0

/* global read inc B loopL */
s_add_u32 s[sgprSrdB+0], s[sgprSrdB+0], s[sgprGlobalReadIncsB+0] // gra SRD += inc(lower)
s_addc_u32  s[sgprSrdB+1], s[sgprSrdB+1], 0        // gra SRD += inc(upper)
s_sub_u32 s[sgprShadowLimitB+0], s[sgprShadowLimitB+0], s[sgprGlobalReadIncsB+0] // limit -= inc)
v_mfma_f32_32x32x8_f16 a[16+0:31+0], v[vgprValuB_X1_I0+0+0+0:vgprValuB_X1_I0+0+0+0+1], v[vgprValuA_X1_I0+2+0+0:vgprValuA_X1_I0+2+0+0+1], a[16:31]
/* numPrefetchIter=0 */
/* dataAtIterA=0 numReadsIterA=2 skipReadsIterA=1 readsPerIterA=4 */
/* dataAtIterB=0 numReadsIterB=2 skipReadsIterB=1 readsPerIterB=4 */


/* iter 2 (reset local read pointers iteration)  (swap and reset local write pointers iteration)  (swap local read pointers iteration)  */

/*  grEndMfmaIndex:4, lwStartMfmaIndex:4, lwEndMfmaIndex:4  */
/*  numMfmaForLR:1, barrierMfmaIndex:6, LocalWritePerMfma:4.000 */
/*  mfmaIndex:4  */
_ds_load_b32 v[vgprValuA_X3_I0_D0+0], v[vgprLocalReadAddrA] offset:6144 // L -> Reg lro=3072 swapByteOffset=0 ti=64 vIdx=0 rIdx=0 oIdx=0 buffer=3 iui=0
_ds_load_b32 v[vgprValuA_X3_I0_D1+0], v[vgprLocalReadAddrA] offset:6272 // L -> Reg lro=3072 swapByteOffset=0 ti=64 vIdx=0 rIdx=1 oIdx=0 buffer=3 iui=0
_ds_load_b32 v[vgprValuA_X3_I0_D2+0], v[vgprLocalReadAddrA] offset:6400 // L -> Reg lro=3072 swapByteOffset=0 ti=64 vIdx=0 rIdx=2 oIdx=0 buffer=3 iui=0
_ds_load_b32 v[vgprValuA_X3_I0_D3+0], v[vgprLocalReadAddrA] offset:6528 // L -> Reg lro=3072 swapByteOffset=0 ti=64 vIdx=0 rIdx=3 oIdx=0 buffer=3 iui=0
s_subb_u32 s[sgprShadowLimitB+1], s[sgprShadowLimitB+1], 0 // limit -= inc)
s_cmp_eq_u32 s[sgprShadowLimitB+1], 0              // are we within 2^32?
s_cmov_b32 s[sgprSrdB+2], s[sgprShadowLimitB+0]    // Move shadow to real if we are within 2^32
/* sched write - iter 2 writesPerItem=1 */
s_waitcnt vmcnt(0)                                 // lgkmcnt=-1 vmcnt=0wait for global read before writing to local
_ds_store_b128 v[vgprLocalWriteAddrA], v[vgprG2LA+0:vgprG2LA+0+3] offset:16384 // lwoA_0_0_0_0 = (0*LSCA) + (0*LSPA)(*MT0I+PAD) = 16384
_buffer_load_b128 v[vgprG2LA+0:vgprG2LA+0+3], v[vgprGlobalReadOffsetA+0], s[sgprSrdA:sgprSrdA+3], 0, offen offset:0 // G -> Reg 0_0_0_0
/* sched write - iter 2 writesPerItem=1 */
s_waitcnt vmcnt(0)                                 // lgkmcnt=-1 vmcnt=0wait for global read before writing to local
_ds_store_b128 v[vgprLocalWriteAddrA], v[vgprG2LA+4:vgprG2LA+4+3] offset:17408 // lwoA_0_0_1_0 = (0*LSCA) + (1*LSPA)(*MT0I+PAD) = 17408
_buffer_load_b128 v[vgprG2LA+4:vgprG2LA+4+3], v[vgprGlobalReadOffsetA+1], s[sgprSrdA:sgprSrdA+3], 0, offen offset:0 // G -> Reg 0_0_1_0
/* sched write - iter 2 writesPerItem=1 */
s_waitcnt vmcnt(0)                                 // lgkmcnt=-1 vmcnt=0wait for global read before writing to local
_ds_store_b128 v[vgprLocalWriteAddrB], v[vgprG2LB+0:vgprG2LB+0+3] offset:16384 // lwoB_0_0_0_0 = (0*LSCB) + (0*LSPB)(*MT1J+PAD) = 16384
_buffer_load_b128 v[vgprG2LB+0:vgprG2LB+0+3], v[vgprGlobalReadOffsetB+0], s[sgprSrdB:sgprSrdB+3], 0, offen offset:0 // G -> Reg 0_0_0_0
/* sched write - iter 2 writesPerItem=1 */
s_waitcnt vmcnt(0)                                 // lgkmcnt=-1 vmcnt=0wait for global read before writing to local
_ds_store_b128 v[vgprLocalWriteAddrB], v[vgprG2LB+4:vgprG2LB+4+3] offset:20480 // lwoB_0_0_1_0 = (0*LSCB) + (1*LSPB)(*MT1J+PAD) = 20480
_buffer_load_b128 v[vgprG2LB+4:vgprG2LB+4+3], v[vgprGlobalReadOffsetB+1], s[sgprSrdB:sgprSrdB+3], 0, offen offset:0 // G -> Reg 0_0_1_0

/* local write swap offsets a */

/* (EPS=1) local write swap internal offset -> 0 */

/* local write swap offsets b */

/* (EPS=1) local write swap internal offset -> 0 */
s_waitcnt lgkmcnt(8)                               // lgkmcnt=0 vmcnt=-1wait for prior local read local write old=0, new=8 newLW=4 newLR=4
/* pack scheduling: packAIdx:2, packBIdx:2 */
v_perm_b32 v[vgprValuA_X2_I0+0], v[vgprValuA_X2_I0_D1+0], v[vgprValuA_X2_I0_D0+0], s[sgprPackKForV0] // select K=01 for vector=0
v_perm_b32 v[vgprValuA_X2_I0+1], v[vgprValuA_X2_I0_D3+0], v[vgprValuA_X2_I0_D2+0], s[sgprPackKForV0] // select K=23 for vector=0
v_or_b32 v[vgprValuB_X2_I0+0], v[vgprValuB_X2_I0+0], v[vgprValuB_X2_I0_D1+0] // pack two half Vgpr to one Vgpr
v_or_b32 v[vgprValuB_X2_I0+1], v[vgprValuB_X2_I0+1], v[vgprValuB_X2_I0_D1+1] // pack two half Vgpr to one Vgpr
v_perm_b32 v[vgprValuA_X2_I0+2], v[vgprValuA_X2_I0_D1+0], v[vgprValuA_X2_I0_D0+0], s[sgprPackKForV1] // select K=01 for vector=1
v_perm_b32 v[vgprValuA_X2_I0+3], v[vgprValuA_X2_I0_D3+0], v[vgprValuA_X2_I0_D2+0], s[sgprPackKForV1] // select K=23 for vector=1
v_mfma_f32_32x32x8_f16 a[0+0:15+0], v[vgprValuB_X2_I0+0+0+0:vgprValuB_X2_I0+0+0+0+1], v[vgprValuA_X2_I0+0+0+0:vgprValuA_X2_I0+0+0+0+1], a[0:15]
/*  mfmaIndex:5  */
_ds_load_u16 v[vgprValuB_X3_I0+0], v[vgprLocalReadAddrB] offset:6144 // L -> Reg lro=3072 swapByteOffset=0 ti=64 vIdx=0 rIdx=0 oIdx=0 buffer=3 iui=0
_ds_load_u16_d16_hi v[vgprValuB_X3_I0_D1+0], v[vgprLocalReadAddrB] offset:6272 // L -> Reg lro=3072 swapByteOffset=0 ti=64 vIdx=0 rIdx=1 oIdx=0 buffer=3 iui=0
_ds_load_u16 v[vgprValuB_X3_I0+1], v[vgprLocalReadAddrB] offset:6400 // L -> Reg lro=3072 swapByteOffset=0 ti=64 vIdx=0 rIdx=2 oIdx=0 buffer=3 iui=0
_ds_load_u16_d16_hi v[vgprValuB_X3_I0_D1+1], v[vgprLocalReadAddrB] offset:6528 // L -> Reg lro=3072 swapByteOffset=0 ti=64 vIdx=0 rIdx=3 oIdx=0 buffer=3 iui=0

/* local read swap offsets a */

/* local read swap internal offset -> 16384 */

/* local read swap offsets b */

/* local read swap internal offset -> 16384 */

/* local read init pointers a */

/* localReadInitPointers */

/* local read init pointers b */

/* localReadInitPointers */
v_mfma_f32_32x32x8_f16 a[16+0:31+0], v[vgprValuB_X2_I0+0+0+0:vgprValuB_X2_I0+0+0+0+1], v[vgprValuA_X2_I0+2+0+0:vgprValuA_X2_I0+2+0+0+1], a[16:31]
/* numPrefetchIter=0 */
/* dataAtIterA=1 numReadsIterA=3 skipReadsIterA=1 readsPerIterA=4 */
/* dataAtIterB=1 numReadsIterB=3 skipReadsIterB=1 readsPerIterB=4 */


/* iter 3 */

/*  grEndMfmaIndex:4, lwStartMfmaIndex:4, lwEndMfmaIndex:4  */
/*  numMfmaForLR:1, barrierMfmaIndex:6, LocalWritePerMfma:4.000 */
/*  mfmaIndex:6  */
s_waitcnt lgkmcnt(0)                               // lgkmcnt=0 vmcnt=-13wait for local write
// Skip force waitcnt0
s_barrier //
s_waitcnt lgkmcnt(0)                               // lgkmcnt=0 vmcnt=-1wait for prior local read local write old=0, new=0 newLW=0 newLR=0
/* pack scheduling: packAIdx:2, packBIdx:2 */
v_perm_b32 v[vgprValuA_X3_I0+0], v[vgprValuA_X3_I0_D1+0], v[vgprValuA_X3_I0_D0+0], s[sgprPackKForV0] // select K=01 for vector=0
v_perm_b32 v[vgprValuA_X3_I0+1], v[vgprValuA_X3_I0_D3+0], v[vgprValuA_X3_I0_D2+0], s[sgprPackKForV0] // select K=23 for vector=0
v_or_b32 v[vgprValuB_X3_I0+0], v[vgprValuB_X3_I0+0], v[vgprValuB_X3_I0_D1+0] // pack two half Vgpr to one Vgpr
v_or_b32 v[vgprValuB_X3_I0+1], v[vgprValuB_X3_I0+1], v[vgprValuB_X3_I0_D1+1] // pack two half Vgpr to one Vgpr
v_perm_b32 v[vgprValuA_X3_I0+2], v[vgprValuA_X3_I0_D1+0], v[vgprValuA_X3_I0_D0+0], s[sgprPackKForV1] // select K=01 for vector=1
v_perm_b32 v[vgprValuA_X3_I0+3], v[vgprValuA_X3_I0_D3+0], v[vgprValuA_X3_I0_D2+0], s[sgprPackKForV1] // select K=23 for vector=1
v_mfma_f32_32x32x8_f16 a[0+0:15+0], v[vgprValuB_X3_I0+0+0+0:vgprValuB_X3_I0+0+0+0+1], v[vgprValuA_X3_I0+0+0+0:vgprValuA_X3_I0+0+0+0+1], a[0:15]
/*  mfmaIndex:7  */
_ds_load_b32 v[vgprValuA_X0_I0_D0+0], v[vgprLocalReadAddrA] offset:16384 // L -> Reg lro=0 swapByteOffset=16384 ti=64 vIdx=0 rIdx=0 oIdx=0 buffer=0 iui=0
_ds_load_b32 v[vgprValuA_X0_I0_D1+0], v[vgprLocalReadAddrA] offset:16512 // L -> Reg lro=0 swapByteOffset=16384 ti=64 vIdx=0 rIdx=1 oIdx=0 buffer=0 iui=0
_ds_load_b32 v[vgprValuA_X0_I0_D2+0], v[vgprLocalReadAddrA] offset:16640 // L -> Reg lro=0 swapByteOffset=16384 ti=64 vIdx=0 rIdx=2 oIdx=0 buffer=0 iui=0
_ds_load_b32 v[vgprValuA_X0_I0_D3+0], v[vgprLocalReadAddrA] offset:16768 // L -> Reg lro=0 swapByteOffset=16384 ti=64 vIdx=0 rIdx=3 oIdx=0 buffer=0 iui=0
_ds_load_u16 v[vgprValuB_X0_I0+0], v[vgprLocalReadAddrB] offset:16384 // L -> Reg lro=0 swapByteOffset=16384 ti=64 vIdx=0 rIdx=0 oIdx=0 buffer=0 iui=0
_ds_load_u16_d16_hi v[vgprValuB_X0_I0_D1+0], v[vgprLocalReadAddrB] offset:16512 // L -> Reg lro=0 swapByteOffset=16384 ti=64 vIdx=0 rIdx=1 oIdx=0 buffer=0 iui=0
_ds_load_u16 v[vgprValuB_X0_I0+1], v[vgprLocalReadAddrB] offset:16640 // L -> Reg lro=0 swapByteOffset=16384 ti=64 vIdx=0 rIdx=2 oIdx=0 buffer=0 iui=0
_ds_load_u16_d16_hi v[vgprValuB_X0_I0_D1+1], v[vgprLocalReadAddrB] offset:16768 // L -> Reg lro=0 swapByteOffset=16384 ti=64 vIdx=0 rIdx=3 oIdx=0 buffer=0 iui=0
v_mfma_f32_32x32x8_f16 a[16+0:31+0], v[vgprValuB_X3_I0+0+0+0:vgprValuB_X3_I0+0+0+0+1], v[vgprValuA_X3_I0+2+0+0:vgprValuA_X3_I0+2+0+0+1], a[16:31]
/* numPrefetchIter=1 */
/* dataAtIterA=2 numReadsIterA=3 skipReadsIterA=1 readsPerIterA=4 */
/* dataAtIterB=2 numReadsIterB=3 skipReadsIterB=1 readsPerIterB=4 */


/******************************************/
/* Unrolled Loop - End 1/2                */
/******************************************/


/* closeLoop loopL finalLoop=0 tailLoop=0 */
s_sub_u32 s[sgprLoopCounterL], s[sgprLoopCounterL], 1 // dec counterL
s_cmp_eq_i32 s[sgprLoopCounterL], 0x2              // counterL==2
s_cbranch_scc1 LoopEndL_oddexit_3                  // exit LoopL


/******************************************/
/* Unrolled Loop 2/2 - Begin              */
/******************************************/

label_0016: // LoopCopy2 


/* Begin Each Unroll: Check VGPR.checkin for INT8 LW */


	;; [unrolled: 1-line block ×3, first 2 shown]
/* iter 0 */

/*  grEndMfmaIndex:4, lwStartMfmaIndex:4, lwEndMfmaIndex:4  */
/*  numMfmaForLR:1, barrierMfmaIndex:6, LocalWritePerMfma:4.000 */
/*  mfmaIndex:0  */
s_waitcnt lgkmcnt(0)                               // lgkmcnt=0 vmcnt=-1wait for prior local read local write old=0, new=0 newLW=0 newLR=0
/* pack scheduling: packAIdx:2, packBIdx:2 */
v_perm_b32 v[vgprValuA_X0_I0+0], v[vgprValuA_X0_I0_D1+0], v[vgprValuA_X0_I0_D0+0], s[sgprPackKForV0] // select K=01 for vector=0
v_perm_b32 v[vgprValuA_X0_I0+1], v[vgprValuA_X0_I0_D3+0], v[vgprValuA_X0_I0_D2+0], s[sgprPackKForV0] // select K=23 for vector=0
v_or_b32 v[vgprValuB_X0_I0+0], v[vgprValuB_X0_I0+0], v[vgprValuB_X0_I0_D1+0] // pack two half Vgpr to one Vgpr
v_or_b32 v[vgprValuB_X0_I0+1], v[vgprValuB_X0_I0+1], v[vgprValuB_X0_I0_D1+1] // pack two half Vgpr to one Vgpr
v_perm_b32 v[vgprValuA_X0_I0+2], v[vgprValuA_X0_I0_D1+0], v[vgprValuA_X0_I0_D0+0], s[sgprPackKForV1] // select K=01 for vector=1
v_perm_b32 v[vgprValuA_X0_I0+3], v[vgprValuA_X0_I0_D3+0], v[vgprValuA_X0_I0_D2+0], s[sgprPackKForV1] // select K=23 for vector=1
v_mfma_f32_32x32x8_f16 a[0+0:15+0], v[vgprValuB_X0_I0+0+0+0:vgprValuB_X0_I0+0+0+0+1], v[vgprValuA_X0_I0+0+0+0:vgprValuA_X0_I0+0+0+0+1], a[0:15]
/*  mfmaIndex:1  */
_ds_load_b32 v[vgprValuA_X1_I0_D0+0], v[vgprLocalReadAddrA] offset:18432 // L -> Reg lro=1024 swapByteOffset=16384 ti=64 vIdx=0 rIdx=0 oIdx=0 buffer=1 iui=0
_ds_load_b32 v[vgprValuA_X1_I0_D1+0], v[vgprLocalReadAddrA] offset:18560 // L -> Reg lro=1024 swapByteOffset=16384 ti=64 vIdx=0 rIdx=1 oIdx=0 buffer=1 iui=0
_ds_load_b32 v[vgprValuA_X1_I0_D2+0], v[vgprLocalReadAddrA] offset:18688 // L -> Reg lro=1024 swapByteOffset=16384 ti=64 vIdx=0 rIdx=2 oIdx=0 buffer=1 iui=0
_ds_load_b32 v[vgprValuA_X1_I0_D3+0], v[vgprLocalReadAddrA] offset:18816 // L -> Reg lro=1024 swapByteOffset=16384 ti=64 vIdx=0 rIdx=3 oIdx=0 buffer=1 iui=0
_ds_load_u16 v[vgprValuB_X1_I0+0], v[vgprLocalReadAddrB] offset:18432 // L -> Reg lro=1024 swapByteOffset=16384 ti=64 vIdx=0 rIdx=0 oIdx=0 buffer=1 iui=0
_ds_load_u16_d16_hi v[vgprValuB_X1_I0_D1+0], v[vgprLocalReadAddrB] offset:18560 // L -> Reg lro=1024 swapByteOffset=16384 ti=64 vIdx=0 rIdx=1 oIdx=0 buffer=1 iui=0
_ds_load_u16 v[vgprValuB_X1_I0+1], v[vgprLocalReadAddrB] offset:18688 // L -> Reg lro=1024 swapByteOffset=16384 ti=64 vIdx=0 rIdx=2 oIdx=0 buffer=1 iui=0
_ds_load_u16_d16_hi v[vgprValuB_X1_I0_D1+1], v[vgprLocalReadAddrB] offset:18816 // L -> Reg lro=1024 swapByteOffset=16384 ti=64 vIdx=0 rIdx=3 oIdx=0 buffer=1 iui=0

/* global read inc A loopL */
s_add_u32 s[sgprSrdA+0], s[sgprSrdA+0], s[sgprGlobalReadIncsA+0] // gra SRD += inc(lower)
s_addc_u32  s[sgprSrdA+1], s[sgprSrdA+1], 0        // gra SRD += inc(upper)
s_sub_u32 s[sgprShadowLimitA+0], s[sgprShadowLimitA+0], s[sgprGlobalReadIncsA+0] // limit -= inc)
v_mfma_f32_32x32x8_f16 a[16+0:31+0], v[vgprValuB_X0_I0+0+0+0:vgprValuB_X0_I0+0+0+0+1], v[vgprValuA_X0_I0+2+0+0:vgprValuA_X0_I0+2+0+0+1], a[16:31]
/* numPrefetchIter=0 */
/* dataAtIterA=-1 numReadsIterA=1 skipReadsIterA=1 readsPerIterA=4 */
/* dataAtIterB=-1 numReadsIterB=1 skipReadsIterB=1 readsPerIterB=4 */


/* iter 1 */

/*  grEndMfmaIndex:4, lwStartMfmaIndex:4, lwEndMfmaIndex:4  */
/*  numMfmaForLR:1, barrierMfmaIndex:6, LocalWritePerMfma:4.000 */
/*  mfmaIndex:2  */
_ds_load_b32 v[vgprValuA_X2_I0_D0+0], v[vgprLocalReadAddrA] offset:20480 // L -> Reg lro=2048 swapByteOffset=16384 ti=64 vIdx=0 rIdx=0 oIdx=0 buffer=2 iui=0
_ds_load_b32 v[vgprValuA_X2_I0_D1+0], v[vgprLocalReadAddrA] offset:20608 // L -> Reg lro=2048 swapByteOffset=16384 ti=64 vIdx=0 rIdx=1 oIdx=0 buffer=2 iui=0
_ds_load_b32 v[vgprValuA_X2_I0_D2+0], v[vgprLocalReadAddrA] offset:20736 // L -> Reg lro=2048 swapByteOffset=16384 ti=64 vIdx=0 rIdx=2 oIdx=0 buffer=2 iui=0
_ds_load_b32 v[vgprValuA_X2_I0_D3+0], v[vgprLocalReadAddrA] offset:20864 // L -> Reg lro=2048 swapByteOffset=16384 ti=64 vIdx=0 rIdx=3 oIdx=0 buffer=2 iui=0
s_subb_u32 s[sgprShadowLimitA+1], s[sgprShadowLimitA+1], 0 // limit -= inc)
s_cmp_eq_u32 s[sgprShadowLimitA+1], 0              // are we within 2^32?
s_cmov_b32 s[sgprSrdA+2], s[sgprShadowLimitA+0]    // Move shadow to real if we are within 2^32
s_waitcnt lgkmcnt(4)                               // lgkmcnt=0 vmcnt=-1wait for prior local read local write old=0, new=4 newLW=0 newLR=4
/* pack scheduling: packAIdx:2, packBIdx:2 */
v_perm_b32 v[vgprValuA_X1_I0+0], v[vgprValuA_X1_I0_D1+0], v[vgprValuA_X1_I0_D0+0], s[sgprPackKForV0] // select K=01 for vector=0
v_perm_b32 v[vgprValuA_X1_I0+1], v[vgprValuA_X1_I0_D3+0], v[vgprValuA_X1_I0_D2+0], s[sgprPackKForV0] // select K=23 for vector=0
v_or_b32 v[vgprValuB_X1_I0+0], v[vgprValuB_X1_I0+0], v[vgprValuB_X1_I0_D1+0] // pack two half Vgpr to one Vgpr
v_or_b32 v[vgprValuB_X1_I0+1], v[vgprValuB_X1_I0+1], v[vgprValuB_X1_I0_D1+1] // pack two half Vgpr to one Vgpr
v_perm_b32 v[vgprValuA_X1_I0+2], v[vgprValuA_X1_I0_D1+0], v[vgprValuA_X1_I0_D0+0], s[sgprPackKForV1] // select K=01 for vector=1
v_perm_b32 v[vgprValuA_X1_I0+3], v[vgprValuA_X1_I0_D3+0], v[vgprValuA_X1_I0_D2+0], s[sgprPackKForV1] // select K=23 for vector=1
v_mfma_f32_32x32x8_f16 a[0+0:15+0], v[vgprValuB_X1_I0+0+0+0:vgprValuB_X1_I0+0+0+0+1], v[vgprValuA_X1_I0+0+0+0:vgprValuA_X1_I0+0+0+0+1], a[0:15]
/*  mfmaIndex:3  */
_ds_load_u16 v[vgprValuB_X2_I0+0], v[vgprLocalReadAddrB] offset:20480 // L -> Reg lro=2048 swapByteOffset=16384 ti=64 vIdx=0 rIdx=0 oIdx=0 buffer=2 iui=0
_ds_load_u16_d16_hi v[vgprValuB_X2_I0_D1+0], v[vgprLocalReadAddrB] offset:20608 // L -> Reg lro=2048 swapByteOffset=16384 ti=64 vIdx=0 rIdx=1 oIdx=0 buffer=2 iui=0
_ds_load_u16 v[vgprValuB_X2_I0+1], v[vgprLocalReadAddrB] offset:20736 // L -> Reg lro=2048 swapByteOffset=16384 ti=64 vIdx=0 rIdx=2 oIdx=0 buffer=2 iui=0
_ds_load_u16_d16_hi v[vgprValuB_X2_I0_D1+1], v[vgprLocalReadAddrB] offset:20864 // L -> Reg lro=2048 swapByteOffset=16384 ti=64 vIdx=0 rIdx=3 oIdx=0 buffer=2 iui=0

/* global read inc B loopL */
s_add_u32 s[sgprSrdB+0], s[sgprSrdB+0], s[sgprGlobalReadIncsB+0] // gra SRD += inc(lower)
s_addc_u32  s[sgprSrdB+1], s[sgprSrdB+1], 0        // gra SRD += inc(upper)
s_sub_u32 s[sgprShadowLimitB+0], s[sgprShadowLimitB+0], s[sgprGlobalReadIncsB+0] // limit -= inc)
v_mfma_f32_32x32x8_f16 a[16+0:31+0], v[vgprValuB_X1_I0+0+0+0:vgprValuB_X1_I0+0+0+0+1], v[vgprValuA_X1_I0+2+0+0:vgprValuA_X1_I0+2+0+0+1], a[16:31]
/* numPrefetchIter=0 */
/* dataAtIterA=0 numReadsIterA=2 skipReadsIterA=1 readsPerIterA=4 */
/* dataAtIterB=0 numReadsIterB=2 skipReadsIterB=1 readsPerIterB=4 */


/* iter 2 (reset local read pointers iteration)  (swap and reset local write pointers iteration)  (swap local read pointers iteration)  */

/*  grEndMfmaIndex:4, lwStartMfmaIndex:4, lwEndMfmaIndex:4  */
/*  numMfmaForLR:1, barrierMfmaIndex:6, LocalWritePerMfma:4.000 */
/*  mfmaIndex:4  */
_ds_load_b32 v[vgprValuA_X3_I0_D0+0], v[vgprLocalReadAddrA] offset:22528 // L -> Reg lro=3072 swapByteOffset=16384 ti=64 vIdx=0 rIdx=0 oIdx=0 buffer=3 iui=0
_ds_load_b32 v[vgprValuA_X3_I0_D1+0], v[vgprLocalReadAddrA] offset:22656 // L -> Reg lro=3072 swapByteOffset=16384 ti=64 vIdx=0 rIdx=1 oIdx=0 buffer=3 iui=0
_ds_load_b32 v[vgprValuA_X3_I0_D2+0], v[vgprLocalReadAddrA] offset:22784 // L -> Reg lro=3072 swapByteOffset=16384 ti=64 vIdx=0 rIdx=2 oIdx=0 buffer=3 iui=0
_ds_load_b32 v[vgprValuA_X3_I0_D3+0], v[vgprLocalReadAddrA] offset:22912 // L -> Reg lro=3072 swapByteOffset=16384 ti=64 vIdx=0 rIdx=3 oIdx=0 buffer=3 iui=0
s_subb_u32 s[sgprShadowLimitB+1], s[sgprShadowLimitB+1], 0 // limit -= inc)
s_cmp_eq_u32 s[sgprShadowLimitB+1], 0              // are we within 2^32?
s_cmov_b32 s[sgprSrdB+2], s[sgprShadowLimitB+0]    // Move shadow to real if we are within 2^32
/* sched write - iter 2 writesPerItem=1 */
s_waitcnt vmcnt(0)                                 // lgkmcnt=-1 vmcnt=0wait for global read before writing to local
_ds_store_b128 v[vgprLocalWriteAddrA], v[vgprG2LA+0:vgprG2LA+0+3] offset:0 // lwoA_0_0_0_0 = (0*LSCA) + (0*LSPA)(*MT0I+PAD) = 0
_buffer_load_b128 v[vgprG2LA+0:vgprG2LA+0+3], v[vgprGlobalReadOffsetA+0], s[sgprSrdA:sgprSrdA+3], 0, offen offset:0 // G -> Reg 0_0_0_0
/* sched write - iter 2 writesPerItem=1 */
s_waitcnt vmcnt(0)                                 // lgkmcnt=-1 vmcnt=0wait for global read before writing to local
_ds_store_b128 v[vgprLocalWriteAddrA], v[vgprG2LA+4:vgprG2LA+4+3] offset:1024 // lwoA_0_0_1_0 = (0*LSCA) + (1*LSPA)(*MT0I+PAD) = 1024
_buffer_load_b128 v[vgprG2LA+4:vgprG2LA+4+3], v[vgprGlobalReadOffsetA+1], s[sgprSrdA:sgprSrdA+3], 0, offen offset:0 // G -> Reg 0_0_1_0
/* sched write - iter 2 writesPerItem=1 */
s_waitcnt vmcnt(0)                                 // lgkmcnt=-1 vmcnt=0wait for global read before writing to local
_ds_store_b128 v[vgprLocalWriteAddrB], v[vgprG2LB+0:vgprG2LB+0+3] offset:0 // lwoB_0_0_0_0 = (0*LSCB) + (0*LSPB)(*MT1J+PAD) = 0
_buffer_load_b128 v[vgprG2LB+0:vgprG2LB+0+3], v[vgprGlobalReadOffsetB+0], s[sgprSrdB:sgprSrdB+3], 0, offen offset:0 // G -> Reg 0_0_0_0
/* sched write - iter 2 writesPerItem=1 */
s_waitcnt vmcnt(0)                                 // lgkmcnt=-1 vmcnt=0wait for global read before writing to local
_ds_store_b128 v[vgprLocalWriteAddrB], v[vgprG2LB+4:vgprG2LB+4+3] offset:4096 // lwoB_0_0_1_0 = (0*LSCB) + (1*LSPB)(*MT1J+PAD) = 4096
_buffer_load_b128 v[vgprG2LB+4:vgprG2LB+4+3], v[vgprGlobalReadOffsetB+1], s[sgprSrdB:sgprSrdB+3], 0, offen offset:0 // G -> Reg 0_0_1_0

/* local write swap offsets a */

/* (EPS=1) local write swap internal offset -> 16384 */

/* local write swap offsets b */

/* (EPS=1) local write swap internal offset -> 16384 */
s_waitcnt lgkmcnt(8)                               // lgkmcnt=0 vmcnt=-1wait for prior local read local write old=0, new=8 newLW=4 newLR=4
/* pack scheduling: packAIdx:2, packBIdx:2 */
v_perm_b32 v[vgprValuA_X2_I0+0], v[vgprValuA_X2_I0_D1+0], v[vgprValuA_X2_I0_D0+0], s[sgprPackKForV0] // select K=01 for vector=0
v_perm_b32 v[vgprValuA_X2_I0+1], v[vgprValuA_X2_I0_D3+0], v[vgprValuA_X2_I0_D2+0], s[sgprPackKForV0] // select K=23 for vector=0
v_or_b32 v[vgprValuB_X2_I0+0], v[vgprValuB_X2_I0+0], v[vgprValuB_X2_I0_D1+0] // pack two half Vgpr to one Vgpr
v_or_b32 v[vgprValuB_X2_I0+1], v[vgprValuB_X2_I0+1], v[vgprValuB_X2_I0_D1+1] // pack two half Vgpr to one Vgpr
v_perm_b32 v[vgprValuA_X2_I0+2], v[vgprValuA_X2_I0_D1+0], v[vgprValuA_X2_I0_D0+0], s[sgprPackKForV1] // select K=01 for vector=1
v_perm_b32 v[vgprValuA_X2_I0+3], v[vgprValuA_X2_I0_D3+0], v[vgprValuA_X2_I0_D2+0], s[sgprPackKForV1] // select K=23 for vector=1
v_mfma_f32_32x32x8_f16 a[0+0:15+0], v[vgprValuB_X2_I0+0+0+0:vgprValuB_X2_I0+0+0+0+1], v[vgprValuA_X2_I0+0+0+0:vgprValuA_X2_I0+0+0+0+1], a[0:15]
/*  mfmaIndex:5  */
_ds_load_u16 v[vgprValuB_X3_I0+0], v[vgprLocalReadAddrB] offset:22528 // L -> Reg lro=3072 swapByteOffset=16384 ti=64 vIdx=0 rIdx=0 oIdx=0 buffer=3 iui=0
_ds_load_u16_d16_hi v[vgprValuB_X3_I0_D1+0], v[vgprLocalReadAddrB] offset:22656 // L -> Reg lro=3072 swapByteOffset=16384 ti=64 vIdx=0 rIdx=1 oIdx=0 buffer=3 iui=0
_ds_load_u16 v[vgprValuB_X3_I0+1], v[vgprLocalReadAddrB] offset:22784 // L -> Reg lro=3072 swapByteOffset=16384 ti=64 vIdx=0 rIdx=2 oIdx=0 buffer=3 iui=0
_ds_load_u16_d16_hi v[vgprValuB_X3_I0_D1+1], v[vgprLocalReadAddrB] offset:22912 // L -> Reg lro=3072 swapByteOffset=16384 ti=64 vIdx=0 rIdx=3 oIdx=0 buffer=3 iui=0

/* local read swap offsets a */

/* local read swap internal offset -> 0 */

/* local read swap offsets b */

/* local read swap internal offset -> 0 */

/* local read init pointers a */

/* localReadInitPointers */

/* local read init pointers b */

/* localReadInitPointers */
v_mfma_f32_32x32x8_f16 a[16+0:31+0], v[vgprValuB_X2_I0+0+0+0:vgprValuB_X2_I0+0+0+0+1], v[vgprValuA_X2_I0+2+0+0:vgprValuA_X2_I0+2+0+0+1], a[16:31]
/* numPrefetchIter=0 */
/* dataAtIterA=1 numReadsIterA=3 skipReadsIterA=1 readsPerIterA=4 */
/* dataAtIterB=1 numReadsIterB=3 skipReadsIterB=1 readsPerIterB=4 */


/* iter 3 */

/*  grEndMfmaIndex:4, lwStartMfmaIndex:4, lwEndMfmaIndex:4  */
/*  numMfmaForLR:1, barrierMfmaIndex:6, LocalWritePerMfma:4.000 */
/*  mfmaIndex:6  */
s_waitcnt lgkmcnt(0)                               // lgkmcnt=0 vmcnt=-13wait for local write
// Skip force waitcnt0
s_barrier //
s_waitcnt lgkmcnt(0)                               // lgkmcnt=0 vmcnt=-1wait for prior local read local write old=0, new=0 newLW=0 newLR=0
/* pack scheduling: packAIdx:2, packBIdx:2 */
v_perm_b32 v[vgprValuA_X3_I0+0], v[vgprValuA_X3_I0_D1+0], v[vgprValuA_X3_I0_D0+0], s[sgprPackKForV0] // select K=01 for vector=0
v_perm_b32 v[vgprValuA_X3_I0+1], v[vgprValuA_X3_I0_D3+0], v[vgprValuA_X3_I0_D2+0], s[sgprPackKForV0] // select K=23 for vector=0
v_or_b32 v[vgprValuB_X3_I0+0], v[vgprValuB_X3_I0+0], v[vgprValuB_X3_I0_D1+0] // pack two half Vgpr to one Vgpr
v_or_b32 v[vgprValuB_X3_I0+1], v[vgprValuB_X3_I0+1], v[vgprValuB_X3_I0_D1+1] // pack two half Vgpr to one Vgpr
v_perm_b32 v[vgprValuA_X3_I0+2], v[vgprValuA_X3_I0_D1+0], v[vgprValuA_X3_I0_D0+0], s[sgprPackKForV1] // select K=01 for vector=1
v_perm_b32 v[vgprValuA_X3_I0+3], v[vgprValuA_X3_I0_D3+0], v[vgprValuA_X3_I0_D2+0], s[sgprPackKForV1] // select K=23 for vector=1
v_mfma_f32_32x32x8_f16 a[0+0:15+0], v[vgprValuB_X3_I0+0+0+0:vgprValuB_X3_I0+0+0+0+1], v[vgprValuA_X3_I0+0+0+0:vgprValuA_X3_I0+0+0+0+1], a[0:15]
/*  mfmaIndex:7  */
_ds_load_b32 v[vgprValuA_X0_I0_D0+0], v[vgprLocalReadAddrA] offset:0 // L -> Reg lro=0 swapByteOffset=0 ti=64 vIdx=0 rIdx=0 oIdx=0 buffer=0 iui=0
_ds_load_b32 v[vgprValuA_X0_I0_D1+0], v[vgprLocalReadAddrA] offset:128 // L -> Reg lro=0 swapByteOffset=0 ti=64 vIdx=0 rIdx=1 oIdx=0 buffer=0 iui=0
_ds_load_b32 v[vgprValuA_X0_I0_D2+0], v[vgprLocalReadAddrA] offset:256 // L -> Reg lro=0 swapByteOffset=0 ti=64 vIdx=0 rIdx=2 oIdx=0 buffer=0 iui=0
_ds_load_b32 v[vgprValuA_X0_I0_D3+0], v[vgprLocalReadAddrA] offset:384 // L -> Reg lro=0 swapByteOffset=0 ti=64 vIdx=0 rIdx=3 oIdx=0 buffer=0 iui=0
_ds_load_u16 v[vgprValuB_X0_I0+0], v[vgprLocalReadAddrB] offset:0 // L -> Reg lro=0 swapByteOffset=0 ti=64 vIdx=0 rIdx=0 oIdx=0 buffer=0 iui=0
_ds_load_u16_d16_hi v[vgprValuB_X0_I0_D1+0], v[vgprLocalReadAddrB] offset:128 // L -> Reg lro=0 swapByteOffset=0 ti=64 vIdx=0 rIdx=1 oIdx=0 buffer=0 iui=0
_ds_load_u16 v[vgprValuB_X0_I0+1], v[vgprLocalReadAddrB] offset:256 // L -> Reg lro=0 swapByteOffset=0 ti=64 vIdx=0 rIdx=2 oIdx=0 buffer=0 iui=0
_ds_load_u16_d16_hi v[vgprValuB_X0_I0_D1+1], v[vgprLocalReadAddrB] offset:384 // L -> Reg lro=0 swapByteOffset=0 ti=64 vIdx=0 rIdx=3 oIdx=0 buffer=0 iui=0
v_mfma_f32_32x32x8_f16 a[16+0:31+0], v[vgprValuB_X3_I0+0+0+0:vgprValuB_X3_I0+0+0+0+1], v[vgprValuA_X3_I0+2+0+0:vgprValuA_X3_I0+2+0+0+1], a[16:31]
/* numPrefetchIter=1 */
/* dataAtIterA=2 numReadsIterA=3 skipReadsIterA=1 readsPerIterA=4 */
/* dataAtIterB=2 numReadsIterB=3 skipReadsIterB=1 readsPerIterB=4 */


/******************************************/
/* Unrolled Loop - End 2/2 (final)        */
/******************************************/


/* closeLoop loopL finalLoop=1 tailLoop=0 */
s_sub_u32 s[sgprLoopCounterL], s[sgprLoopCounterL], 1 // dec counterL
s_cmp_eq_i32 s[sgprLoopCounterL], 0x2              // counterL==2
s_cbranch_scc0 LoopBeginL_1                        // restart LoopL
LoopEndL_evenexit_4: // unroll loop eveniter exit
v_xor_b32 v[vgprLocalWriteAddrA+0], 0x4000, v[vgprLocalWriteAddrA+0] // swap Red Blk
v_xor_b32 v[vgprLocalWriteAddrB+0], 0x4000, v[vgprLocalWriteAddrB+0] // swap Red Blk

/* (EPS=1) local write swap internal offset -> 0 */

/* (EPS=1) local write swap internal offset -> 0 */
s_branch LoopEndL_2                                // exit unroll loopL (and skip second exit code)
LoopEndL_oddexit_3: // unroll loop odditer exit

/* Select high bank of LDS */
v_xor_b32 v[vgprLocalReadAddrA], 0x4000, v[vgprLocalReadAddrA] // swap Red Blk
v_xor_b32 v[vgprLocalReadAddrB], 0x4000, v[vgprLocalReadAddrB] // swap Red Blk
LoopEndL_2:


/* Before NLL: Check VGPR.checkin for INT8 LW */


/******************************************/
/* Ord. NoGlobalLoadLoop - Begin                                      */
/******************************************/


	;; [unrolled: 1-line block ×3, first 2 shown]
/* iter 0 */

/*  grEndMfmaIndex:4, lwStartMfmaIndex:4, lwEndMfmaIndex:4  */
/*  numMfmaForLR:1, barrierMfmaIndex:6, LocalWritePerMfma:4.000 */
/*  mfmaIndex:0  */
s_waitcnt lgkmcnt(0)                               // lgkmcnt=0 vmcnt=-1wait for prior local read local write old=0, new=0 newLW=0 newLR=0
/* pack scheduling: packAIdx:2, packBIdx:2 */
v_perm_b32 v[vgprValuA_X0_I0+0], v[vgprValuA_X0_I0_D1+0], v[vgprValuA_X0_I0_D0+0], s[sgprPackKForV0] // select K=01 for vector=0
v_perm_b32 v[vgprValuA_X0_I0+1], v[vgprValuA_X0_I0_D3+0], v[vgprValuA_X0_I0_D2+0], s[sgprPackKForV0] // select K=23 for vector=0
v_or_b32 v[vgprValuB_X0_I0+0], v[vgprValuB_X0_I0+0], v[vgprValuB_X0_I0_D1+0] // pack two half Vgpr to one Vgpr
v_or_b32 v[vgprValuB_X0_I0+1], v[vgprValuB_X0_I0+1], v[vgprValuB_X0_I0_D1+1] // pack two half Vgpr to one Vgpr
v_perm_b32 v[vgprValuA_X0_I0+2], v[vgprValuA_X0_I0_D1+0], v[vgprValuA_X0_I0_D0+0], s[sgprPackKForV1] // select K=01 for vector=1
v_perm_b32 v[vgprValuA_X0_I0+3], v[vgprValuA_X0_I0_D3+0], v[vgprValuA_X0_I0_D2+0], s[sgprPackKForV1] // select K=23 for vector=1
v_mfma_f32_32x32x8_f16 a[0+0:15+0], v[vgprValuB_X0_I0+0+0+0:vgprValuB_X0_I0+0+0+0+1], v[vgprValuA_X0_I0+0+0+0:vgprValuA_X0_I0+0+0+0+1], a[0:15]
/*  mfmaIndex:1  */
_ds_load_b32 v[vgprValuA_X1_I0_D0+0], v[vgprLocalReadAddrA] offset:2048 // L -> Reg lro=1024 swapByteOffset=0 ti=64 vIdx=0 rIdx=0 oIdx=0 buffer=1 iui=0
_ds_load_b32 v[vgprValuA_X1_I0_D1+0], v[vgprLocalReadAddrA] offset:2176 // L -> Reg lro=1024 swapByteOffset=0 ti=64 vIdx=0 rIdx=1 oIdx=0 buffer=1 iui=0
_ds_load_b32 v[vgprValuA_X1_I0_D2+0], v[vgprLocalReadAddrA] offset:2304 // L -> Reg lro=1024 swapByteOffset=0 ti=64 vIdx=0 rIdx=2 oIdx=0 buffer=1 iui=0
_ds_load_b32 v[vgprValuA_X1_I0_D3+0], v[vgprLocalReadAddrA] offset:2432 // L -> Reg lro=1024 swapByteOffset=0 ti=64 vIdx=0 rIdx=3 oIdx=0 buffer=1 iui=0
_ds_load_u16 v[vgprValuB_X1_I0+0], v[vgprLocalReadAddrB] offset:2048 // L -> Reg lro=1024 swapByteOffset=0 ti=64 vIdx=0 rIdx=0 oIdx=0 buffer=1 iui=0
_ds_load_u16_d16_hi v[vgprValuB_X1_I0_D1+0], v[vgprLocalReadAddrB] offset:2176 // L -> Reg lro=1024 swapByteOffset=0 ti=64 vIdx=0 rIdx=1 oIdx=0 buffer=1 iui=0
_ds_load_u16 v[vgprValuB_X1_I0+1], v[vgprLocalReadAddrB] offset:2304 // L -> Reg lro=1024 swapByteOffset=0 ti=64 vIdx=0 rIdx=2 oIdx=0 buffer=1 iui=0
_ds_load_u16_d16_hi v[vgprValuB_X1_I0_D1+1], v[vgprLocalReadAddrB] offset:2432 // L -> Reg lro=1024 swapByteOffset=0 ti=64 vIdx=0 rIdx=3 oIdx=0 buffer=1 iui=0

/* global read inc A loopL */
s_add_u32 s[sgprSrdA+0], s[sgprSrdA+0], s[sgprGlobalReadIncsA+0] // gra SRD += inc(lower)
s_addc_u32  s[sgprSrdA+1], s[sgprSrdA+1], 0        // gra SRD += inc(upper)
s_sub_u32 s[sgprShadowLimitA+0], s[sgprShadowLimitA+0], s[sgprGlobalReadIncsA+0] // limit -= inc)
v_mfma_f32_32x32x8_f16 a[16+0:31+0], v[vgprValuB_X0_I0+0+0+0:vgprValuB_X0_I0+0+0+0+1], v[vgprValuA_X0_I0+2+0+0:vgprValuA_X0_I0+2+0+0+1], a[16:31]
/* numPrefetchIter=0 */
/* dataAtIterA=-1 numReadsIterA=1 skipReadsIterA=1 readsPerIterA=4 */
/* dataAtIterB=-1 numReadsIterB=1 skipReadsIterB=1 readsPerIterB=4 */


/* iter 1 */

/*  grEndMfmaIndex:4, lwStartMfmaIndex:4, lwEndMfmaIndex:4  */
/*  numMfmaForLR:1, barrierMfmaIndex:6, LocalWritePerMfma:4.000 */
/*  mfmaIndex:2  */
_ds_load_b32 v[vgprValuA_X2_I0_D0+0], v[vgprLocalReadAddrA] offset:4096 // L -> Reg lro=2048 swapByteOffset=0 ti=64 vIdx=0 rIdx=0 oIdx=0 buffer=2 iui=0
_ds_load_b32 v[vgprValuA_X2_I0_D1+0], v[vgprLocalReadAddrA] offset:4224 // L -> Reg lro=2048 swapByteOffset=0 ti=64 vIdx=0 rIdx=1 oIdx=0 buffer=2 iui=0
_ds_load_b32 v[vgprValuA_X2_I0_D2+0], v[vgprLocalReadAddrA] offset:4352 // L -> Reg lro=2048 swapByteOffset=0 ti=64 vIdx=0 rIdx=2 oIdx=0 buffer=2 iui=0
_ds_load_b32 v[vgprValuA_X2_I0_D3+0], v[vgprLocalReadAddrA] offset:4480 // L -> Reg lro=2048 swapByteOffset=0 ti=64 vIdx=0 rIdx=3 oIdx=0 buffer=2 iui=0
s_subb_u32 s[sgprShadowLimitA+1], s[sgprShadowLimitA+1], 0 // limit -= inc)
s_cmp_eq_u32 s[sgprShadowLimitA+1], 0              // are we within 2^32?
s_cmov_b32 s[sgprSrdA+2], s[sgprShadowLimitA+0]    // Move shadow to real if we are within 2^32
s_waitcnt lgkmcnt(4)                               // lgkmcnt=0 vmcnt=-1wait for prior local read local write old=0, new=4 newLW=0 newLR=4
/* pack scheduling: packAIdx:2, packBIdx:2 */
v_perm_b32 v[vgprValuA_X1_I0+0], v[vgprValuA_X1_I0_D1+0], v[vgprValuA_X1_I0_D0+0], s[sgprPackKForV0] // select K=01 for vector=0
v_perm_b32 v[vgprValuA_X1_I0+1], v[vgprValuA_X1_I0_D3+0], v[vgprValuA_X1_I0_D2+0], s[sgprPackKForV0] // select K=23 for vector=0
v_or_b32 v[vgprValuB_X1_I0+0], v[vgprValuB_X1_I0+0], v[vgprValuB_X1_I0_D1+0] // pack two half Vgpr to one Vgpr
v_or_b32 v[vgprValuB_X1_I0+1], v[vgprValuB_X1_I0+1], v[vgprValuB_X1_I0_D1+1] // pack two half Vgpr to one Vgpr
v_perm_b32 v[vgprValuA_X1_I0+2], v[vgprValuA_X1_I0_D1+0], v[vgprValuA_X1_I0_D0+0], s[sgprPackKForV1] // select K=01 for vector=1
v_perm_b32 v[vgprValuA_X1_I0+3], v[vgprValuA_X1_I0_D3+0], v[vgprValuA_X1_I0_D2+0], s[sgprPackKForV1] // select K=23 for vector=1
v_mfma_f32_32x32x8_f16 a[0+0:15+0], v[vgprValuB_X1_I0+0+0+0:vgprValuB_X1_I0+0+0+0+1], v[vgprValuA_X1_I0+0+0+0:vgprValuA_X1_I0+0+0+0+1], a[0:15]
/*  mfmaIndex:3  */
_ds_load_u16 v[vgprValuB_X2_I0+0], v[vgprLocalReadAddrB] offset:4096 // L -> Reg lro=2048 swapByteOffset=0 ti=64 vIdx=0 rIdx=0 oIdx=0 buffer=2 iui=0
_ds_load_u16_d16_hi v[vgprValuB_X2_I0_D1+0], v[vgprLocalReadAddrB] offset:4224 // L -> Reg lro=2048 swapByteOffset=0 ti=64 vIdx=0 rIdx=1 oIdx=0 buffer=2 iui=0
_ds_load_u16 v[vgprValuB_X2_I0+1], v[vgprLocalReadAddrB] offset:4352 // L -> Reg lro=2048 swapByteOffset=0 ti=64 vIdx=0 rIdx=2 oIdx=0 buffer=2 iui=0
_ds_load_u16_d16_hi v[vgprValuB_X2_I0_D1+1], v[vgprLocalReadAddrB] offset:4480 // L -> Reg lro=2048 swapByteOffset=0 ti=64 vIdx=0 rIdx=3 oIdx=0 buffer=2 iui=0

/* global read inc B loopL */
s_add_u32 s[sgprSrdB+0], s[sgprSrdB+0], s[sgprGlobalReadIncsB+0] // gra SRD += inc(lower)
s_addc_u32  s[sgprSrdB+1], s[sgprSrdB+1], 0        // gra SRD += inc(upper)
s_sub_u32 s[sgprShadowLimitB+0], s[sgprShadowLimitB+0], s[sgprGlobalReadIncsB+0] // limit -= inc)
v_mfma_f32_32x32x8_f16 a[16+0:31+0], v[vgprValuB_X1_I0+0+0+0:vgprValuB_X1_I0+0+0+0+1], v[vgprValuA_X1_I0+2+0+0:vgprValuA_X1_I0+2+0+0+1], a[16:31]
/* numPrefetchIter=0 */
/* dataAtIterA=0 numReadsIterA=2 skipReadsIterA=1 readsPerIterA=4 */
/* dataAtIterB=0 numReadsIterB=2 skipReadsIterB=1 readsPerIterB=4 */


/* iter 2 (reset local read pointers iteration)  (swap and reset local write pointers iteration)  (swap local read pointers iteration)  */

/*  grEndMfmaIndex:4, lwStartMfmaIndex:4, lwEndMfmaIndex:4  */
/*  numMfmaForLR:1, barrierMfmaIndex:6, LocalWritePerMfma:4.000 */
/*  mfmaIndex:4  */
_ds_load_b32 v[vgprValuA_X3_I0_D0+0], v[vgprLocalReadAddrA] offset:6144 // L -> Reg lro=3072 swapByteOffset=0 ti=64 vIdx=0 rIdx=0 oIdx=0 buffer=3 iui=0
_ds_load_b32 v[vgprValuA_X3_I0_D1+0], v[vgprLocalReadAddrA] offset:6272 // L -> Reg lro=3072 swapByteOffset=0 ti=64 vIdx=0 rIdx=1 oIdx=0 buffer=3 iui=0
_ds_load_b32 v[vgprValuA_X3_I0_D2+0], v[vgprLocalReadAddrA] offset:6400 // L -> Reg lro=3072 swapByteOffset=0 ti=64 vIdx=0 rIdx=2 oIdx=0 buffer=3 iui=0
_ds_load_b32 v[vgprValuA_X3_I0_D3+0], v[vgprLocalReadAddrA] offset:6528 // L -> Reg lro=3072 swapByteOffset=0 ti=64 vIdx=0 rIdx=3 oIdx=0 buffer=3 iui=0
s_subb_u32 s[sgprShadowLimitB+1], s[sgprShadowLimitB+1], 0 // limit -= inc)
s_cmp_eq_u32 s[sgprShadowLimitB+1], 0              // are we within 2^32?
s_cmov_b32 s[sgprSrdB+2], s[sgprShadowLimitB+0]    // Move shadow to real if we are within 2^32
/* sched write - iter 2 writesPerItem=1 */
s_waitcnt vmcnt(0)                                 // lgkmcnt=-1 vmcnt=0wait for global read before writing to local
_ds_store_b128 v[vgprLocalWriteAddrA], v[vgprG2LA+0:vgprG2LA+0+3] offset:0 // lwoA_0_0_0_0 = (0*LSCA) + (0*LSPA)(*MT0I+PAD) = 0
/* sched write - iter 2 writesPerItem=1 */
s_waitcnt vmcnt(0)                                 // lgkmcnt=-1 vmcnt=0wait for global read before writing to local
_ds_store_b128 v[vgprLocalWriteAddrA], v[vgprG2LA+4:vgprG2LA+4+3] offset:1024 // lwoA_0_0_1_0 = (0*LSCA) + (1*LSPA)(*MT0I+PAD) = 1024
/* sched write - iter 2 writesPerItem=1 */
s_waitcnt vmcnt(0)                                 // lgkmcnt=-1 vmcnt=0wait for global read before writing to local
_ds_store_b128 v[vgprLocalWriteAddrB], v[vgprG2LB+0:vgprG2LB+0+3] offset:0 // lwoB_0_0_0_0 = (0*LSCB) + (0*LSPB)(*MT1J+PAD) = 0
/* sched write - iter 2 writesPerItem=1 */
s_waitcnt vmcnt(0)                                 // lgkmcnt=-1 vmcnt=0wait for global read before writing to local
_ds_store_b128 v[vgprLocalWriteAddrB], v[vgprG2LB+4:vgprG2LB+4+3] offset:4096 // lwoB_0_0_1_0 = (0*LSCB) + (1*LSPB)(*MT1J+PAD) = 4096

/* local write swap offsets a */

/* (EPS=1) local write swap internal offset -> 16384 */

/* local write swap offsets b */

/* (EPS=1) local write swap internal offset -> 16384 */
s_waitcnt lgkmcnt(8)                               // lgkmcnt=0 vmcnt=-1wait for prior local read local write old=0, new=8 newLW=4 newLR=4
/* pack scheduling: packAIdx:2, packBIdx:2 */
v_perm_b32 v[vgprValuA_X2_I0+0], v[vgprValuA_X2_I0_D1+0], v[vgprValuA_X2_I0_D0+0], s[sgprPackKForV0] // select K=01 for vector=0
v_perm_b32 v[vgprValuA_X2_I0+1], v[vgprValuA_X2_I0_D3+0], v[vgprValuA_X2_I0_D2+0], s[sgprPackKForV0] // select K=23 for vector=0
v_or_b32 v[vgprValuB_X2_I0+0], v[vgprValuB_X2_I0+0], v[vgprValuB_X2_I0_D1+0] // pack two half Vgpr to one Vgpr
v_or_b32 v[vgprValuB_X2_I0+1], v[vgprValuB_X2_I0+1], v[vgprValuB_X2_I0_D1+1] // pack two half Vgpr to one Vgpr
v_perm_b32 v[vgprValuA_X2_I0+2], v[vgprValuA_X2_I0_D1+0], v[vgprValuA_X2_I0_D0+0], s[sgprPackKForV1] // select K=01 for vector=1
v_perm_b32 v[vgprValuA_X2_I0+3], v[vgprValuA_X2_I0_D3+0], v[vgprValuA_X2_I0_D2+0], s[sgprPackKForV1] // select K=23 for vector=1
v_mfma_f32_32x32x8_f16 a[0+0:15+0], v[vgprValuB_X2_I0+0+0+0:vgprValuB_X2_I0+0+0+0+1], v[vgprValuA_X2_I0+0+0+0:vgprValuA_X2_I0+0+0+0+1], a[0:15]
/*  mfmaIndex:5  */
_ds_load_u16 v[vgprValuB_X3_I0+0], v[vgprLocalReadAddrB] offset:6144 // L -> Reg lro=3072 swapByteOffset=0 ti=64 vIdx=0 rIdx=0 oIdx=0 buffer=3 iui=0
_ds_load_u16_d16_hi v[vgprValuB_X3_I0_D1+0], v[vgprLocalReadAddrB] offset:6272 // L -> Reg lro=3072 swapByteOffset=0 ti=64 vIdx=0 rIdx=1 oIdx=0 buffer=3 iui=0
_ds_load_u16 v[vgprValuB_X3_I0+1], v[vgprLocalReadAddrB] offset:6400 // L -> Reg lro=3072 swapByteOffset=0 ti=64 vIdx=0 rIdx=2 oIdx=0 buffer=3 iui=0
_ds_load_u16_d16_hi v[vgprValuB_X3_I0_D1+1], v[vgprLocalReadAddrB] offset:6528 // L -> Reg lro=3072 swapByteOffset=0 ti=64 vIdx=0 rIdx=3 oIdx=0 buffer=3 iui=0

/* local read swap offsets a */
v_xor_b32 v[vgprLocalReadAddrA], 0x4000, v[vgprLocalReadAddrA] // swap Red Blk

/* local read swap offsets b */
v_xor_b32 v[vgprLocalReadAddrB], 0x4000, v[vgprLocalReadAddrB] // swap Red Blk

/* local read init pointers a */

/* localReadInitPointers */

/* local read init pointers b */

/* localReadInitPointers */
v_mfma_f32_32x32x8_f16 a[16+0:31+0], v[vgprValuB_X2_I0+0+0+0:vgprValuB_X2_I0+0+0+0+1], v[vgprValuA_X2_I0+2+0+0:vgprValuA_X2_I0+2+0+0+1], a[16:31]
/* numPrefetchIter=0 */
/* dataAtIterA=1 numReadsIterA=3 skipReadsIterA=1 readsPerIterA=4 */
/* dataAtIterB=1 numReadsIterB=3 skipReadsIterB=1 readsPerIterB=4 */


/* iter 3 */

/*  grEndMfmaIndex:4, lwStartMfmaIndex:4, lwEndMfmaIndex:4  */
/*  numMfmaForLR:1, barrierMfmaIndex:6, LocalWritePerMfma:4.000 */
/*  mfmaIndex:6  */
s_waitcnt lgkmcnt(0)                               // lgkmcnt=0 vmcnt=-13wait for local write
// Skip force waitcnt0
s_barrier //
s_waitcnt lgkmcnt(0)                               // lgkmcnt=0 vmcnt=-1wait for prior local read local write old=0, new=0 newLW=0 newLR=0
/* pack scheduling: packAIdx:2, packBIdx:2 */
v_perm_b32 v[vgprValuA_X3_I0+0], v[vgprValuA_X3_I0_D1+0], v[vgprValuA_X3_I0_D0+0], s[sgprPackKForV0] // select K=01 for vector=0
v_perm_b32 v[vgprValuA_X3_I0+1], v[vgprValuA_X3_I0_D3+0], v[vgprValuA_X3_I0_D2+0], s[sgprPackKForV0] // select K=23 for vector=0
v_or_b32 v[vgprValuB_X3_I0+0], v[vgprValuB_X3_I0+0], v[vgprValuB_X3_I0_D1+0] // pack two half Vgpr to one Vgpr
v_or_b32 v[vgprValuB_X3_I0+1], v[vgprValuB_X3_I0+1], v[vgprValuB_X3_I0_D1+1] // pack two half Vgpr to one Vgpr
v_perm_b32 v[vgprValuA_X3_I0+2], v[vgprValuA_X3_I0_D1+0], v[vgprValuA_X3_I0_D0+0], s[sgprPackKForV1] // select K=01 for vector=1
v_perm_b32 v[vgprValuA_X3_I0+3], v[vgprValuA_X3_I0_D3+0], v[vgprValuA_X3_I0_D2+0], s[sgprPackKForV1] // select K=23 for vector=1
v_mfma_f32_32x32x8_f16 a[0+0:15+0], v[vgprValuB_X3_I0+0+0+0:vgprValuB_X3_I0+0+0+0+1], v[vgprValuA_X3_I0+0+0+0:vgprValuA_X3_I0+0+0+0+1], a[0:15]
/*  mfmaIndex:7  */
_ds_load_b32 v[vgprValuA_X0_I0_D0+0], v[vgprLocalReadAddrA] offset:0 // L -> Reg lro=0 swapByteOffset=0 ti=64 vIdx=0 rIdx=0 oIdx=0 buffer=0 iui=0
_ds_load_b32 v[vgprValuA_X0_I0_D1+0], v[vgprLocalReadAddrA] offset:128 // L -> Reg lro=0 swapByteOffset=0 ti=64 vIdx=0 rIdx=1 oIdx=0 buffer=0 iui=0
_ds_load_b32 v[vgprValuA_X0_I0_D2+0], v[vgprLocalReadAddrA] offset:256 // L -> Reg lro=0 swapByteOffset=0 ti=64 vIdx=0 rIdx=2 oIdx=0 buffer=0 iui=0
_ds_load_b32 v[vgprValuA_X0_I0_D3+0], v[vgprLocalReadAddrA] offset:384 // L -> Reg lro=0 swapByteOffset=0 ti=64 vIdx=0 rIdx=3 oIdx=0 buffer=0 iui=0
_ds_load_u16 v[vgprValuB_X0_I0+0], v[vgprLocalReadAddrB] offset:0 // L -> Reg lro=0 swapByteOffset=0 ti=64 vIdx=0 rIdx=0 oIdx=0 buffer=0 iui=0
_ds_load_u16_d16_hi v[vgprValuB_X0_I0_D1+0], v[vgprLocalReadAddrB] offset:128 // L -> Reg lro=0 swapByteOffset=0 ti=64 vIdx=0 rIdx=1 oIdx=0 buffer=0 iui=0
_ds_load_u16 v[vgprValuB_X0_I0+1], v[vgprLocalReadAddrB] offset:256 // L -> Reg lro=0 swapByteOffset=0 ti=64 vIdx=0 rIdx=2 oIdx=0 buffer=0 iui=0
_ds_load_u16_d16_hi v[vgprValuB_X0_I0_D1+1], v[vgprLocalReadAddrB] offset:384 // L -> Reg lro=0 swapByteOffset=0 ti=64 vIdx=0 rIdx=3 oIdx=0 buffer=0 iui=0
v_mfma_f32_32x32x8_f16 a[16+0:31+0], v[vgprValuB_X3_I0+0+0+0:vgprValuB_X3_I0+0+0+0+1], v[vgprValuA_X3_I0+2+0+0:vgprValuA_X3_I0+2+0+0+1], a[16:31]
/* numPrefetchIter=1 */
/* dataAtIterA=2 numReadsIterA=3 skipReadsIterA=1 readsPerIterA=4 */
/* dataAtIterB=2 numReadsIterB=3 skipReadsIterB=1 readsPerIterB=4 */

label_0014:


/******************************************/
/* Ord. NoLoadLoop - Begin                                      */
/******************************************/


	;; [unrolled: 1-line block ×4, first 2 shown]
/* iter 0 (last unrolled loop) */

/*  grEndMfmaIndex:0, lwStartMfmaIndex:4, lwEndMfmaIndex:4  */
/*  numMfmaForLR:1, barrierMfmaIndex:6, LocalWritePerMfma:4.000 */
/*  mfmaIndex:0  */
s_waitcnt lgkmcnt(0)                               // lgkmcnt=0 vmcnt=-1wait for prior local read local write old=0, new=0 newLW=0 newLR=0
/* pack scheduling: packAIdx:2, packBIdx:2 */
v_perm_b32 v[vgprValuA_X0_I0+0], v[vgprValuA_X0_I0_D1+0], v[vgprValuA_X0_I0_D0+0], s[sgprPackKForV0] // select K=01 for vector=0
v_perm_b32 v[vgprValuA_X0_I0+1], v[vgprValuA_X0_I0_D3+0], v[vgprValuA_X0_I0_D2+0], s[sgprPackKForV0] // select K=23 for vector=0
v_or_b32 v[vgprValuB_X0_I0+0], v[vgprValuB_X0_I0+0], v[vgprValuB_X0_I0_D1+0] // pack two half Vgpr to one Vgpr
v_or_b32 v[vgprValuB_X0_I0+1], v[vgprValuB_X0_I0+1], v[vgprValuB_X0_I0_D1+1] // pack two half Vgpr to one Vgpr
v_perm_b32 v[vgprValuA_X0_I0+2], v[vgprValuA_X0_I0_D1+0], v[vgprValuA_X0_I0_D0+0], s[sgprPackKForV1] // select K=01 for vector=1
v_perm_b32 v[vgprValuA_X0_I0+3], v[vgprValuA_X0_I0_D3+0], v[vgprValuA_X0_I0_D2+0], s[sgprPackKForV1] // select K=23 for vector=1
v_mfma_f32_32x32x8_f16 a[0+0:15+0], v[vgprValuB_X0_I0+0+0+0:vgprValuB_X0_I0+0+0+0+1], v[vgprValuA_X0_I0+0+0+0:vgprValuA_X0_I0+0+0+0+1], a[0:15]
/*  mfmaIndex:1  */
_ds_load_b32 v[vgprValuA_X1_I0_D0+0], v[vgprLocalReadAddrA] offset:2048 // L -> Reg lro=1024 swapByteOffset=0 ti=64 vIdx=0 rIdx=0 oIdx=0 buffer=1 iui=0
_ds_load_b32 v[vgprValuA_X1_I0_D1+0], v[vgprLocalReadAddrA] offset:2176 // L -> Reg lro=1024 swapByteOffset=0 ti=64 vIdx=0 rIdx=1 oIdx=0 buffer=1 iui=0
_ds_load_b32 v[vgprValuA_X1_I0_D2+0], v[vgprLocalReadAddrA] offset:2304 // L -> Reg lro=1024 swapByteOffset=0 ti=64 vIdx=0 rIdx=2 oIdx=0 buffer=1 iui=0
_ds_load_b32 v[vgprValuA_X1_I0_D3+0], v[vgprLocalReadAddrA] offset:2432 // L -> Reg lro=1024 swapByteOffset=0 ti=64 vIdx=0 rIdx=3 oIdx=0 buffer=1 iui=0
_ds_load_u16 v[vgprValuB_X1_I0+0], v[vgprLocalReadAddrB] offset:2048 // L -> Reg lro=1024 swapByteOffset=0 ti=64 vIdx=0 rIdx=0 oIdx=0 buffer=1 iui=0
_ds_load_u16_d16_hi v[vgprValuB_X1_I0_D1+0], v[vgprLocalReadAddrB] offset:2176 // L -> Reg lro=1024 swapByteOffset=0 ti=64 vIdx=0 rIdx=1 oIdx=0 buffer=1 iui=0
_ds_load_u16 v[vgprValuB_X1_I0+1], v[vgprLocalReadAddrB] offset:2304 // L -> Reg lro=1024 swapByteOffset=0 ti=64 vIdx=0 rIdx=2 oIdx=0 buffer=1 iui=0
_ds_load_u16_d16_hi v[vgprValuB_X1_I0_D1+1], v[vgprLocalReadAddrB] offset:2432 // L -> Reg lro=1024 swapByteOffset=0 ti=64 vIdx=0 rIdx=3 oIdx=0 buffer=1 iui=0
v_mfma_f32_32x32x8_f16 a[16+0:31+0], v[vgprValuB_X0_I0+0+0+0:vgprValuB_X0_I0+0+0+0+1], v[vgprValuA_X0_I0+2+0+0:vgprValuA_X0_I0+2+0+0+1], a[16:31]
/* numPrefetchIter=0 */
/* dataAtIterA=-1 numReadsIterA=1 skipReadsIterA=1 readsPerIterA=4 */
/* dataAtIterB=-1 numReadsIterB=1 skipReadsIterB=1 readsPerIterB=4 */


/* iter 1 (last unrolled loop) */

/*  grEndMfmaIndex:0, lwStartMfmaIndex:4, lwEndMfmaIndex:4  */
/*  numMfmaForLR:1, barrierMfmaIndex:6, LocalWritePerMfma:4.000 */
/*  mfmaIndex:2  */
_ds_load_b32 v[vgprValuA_X2_I0_D0+0], v[vgprLocalReadAddrA] offset:4096 // L -> Reg lro=2048 swapByteOffset=0 ti=64 vIdx=0 rIdx=0 oIdx=0 buffer=2 iui=0
_ds_load_b32 v[vgprValuA_X2_I0_D1+0], v[vgprLocalReadAddrA] offset:4224 // L -> Reg lro=2048 swapByteOffset=0 ti=64 vIdx=0 rIdx=1 oIdx=0 buffer=2 iui=0
_ds_load_b32 v[vgprValuA_X2_I0_D2+0], v[vgprLocalReadAddrA] offset:4352 // L -> Reg lro=2048 swapByteOffset=0 ti=64 vIdx=0 rIdx=2 oIdx=0 buffer=2 iui=0
_ds_load_b32 v[vgprValuA_X2_I0_D3+0], v[vgprLocalReadAddrA] offset:4480 // L -> Reg lro=2048 swapByteOffset=0 ti=64 vIdx=0 rIdx=3 oIdx=0 buffer=2 iui=0
s_waitcnt lgkmcnt(4)                               // lgkmcnt=0 vmcnt=-1wait for prior local read local write old=0, new=4 newLW=0 newLR=4
/* pack scheduling: packAIdx:2, packBIdx:2 */
v_perm_b32 v[vgprValuA_X1_I0+0], v[vgprValuA_X1_I0_D1+0], v[vgprValuA_X1_I0_D0+0], s[sgprPackKForV0] // select K=01 for vector=0
v_perm_b32 v[vgprValuA_X1_I0+1], v[vgprValuA_X1_I0_D3+0], v[vgprValuA_X1_I0_D2+0], s[sgprPackKForV0] // select K=23 for vector=0
v_or_b32 v[vgprValuB_X1_I0+0], v[vgprValuB_X1_I0+0], v[vgprValuB_X1_I0_D1+0] // pack two half Vgpr to one Vgpr
v_or_b32 v[vgprValuB_X1_I0+1], v[vgprValuB_X1_I0+1], v[vgprValuB_X1_I0_D1+1] // pack two half Vgpr to one Vgpr
v_perm_b32 v[vgprValuA_X1_I0+2], v[vgprValuA_X1_I0_D1+0], v[vgprValuA_X1_I0_D0+0], s[sgprPackKForV1] // select K=01 for vector=1
v_perm_b32 v[vgprValuA_X1_I0+3], v[vgprValuA_X1_I0_D3+0], v[vgprValuA_X1_I0_D2+0], s[sgprPackKForV1] // select K=23 for vector=1
v_mfma_f32_32x32x8_f16 a[0+0:15+0], v[vgprValuB_X1_I0+0+0+0:vgprValuB_X1_I0+0+0+0+1], v[vgprValuA_X1_I0+0+0+0:vgprValuA_X1_I0+0+0+0+1], a[0:15]
/*  mfmaIndex:3  */
_ds_load_u16 v[vgprValuB_X2_I0+0], v[vgprLocalReadAddrB] offset:4096 // L -> Reg lro=2048 swapByteOffset=0 ti=64 vIdx=0 rIdx=0 oIdx=0 buffer=2 iui=0
_ds_load_u16_d16_hi v[vgprValuB_X2_I0_D1+0], v[vgprLocalReadAddrB] offset:4224 // L -> Reg lro=2048 swapByteOffset=0 ti=64 vIdx=0 rIdx=1 oIdx=0 buffer=2 iui=0
_ds_load_u16 v[vgprValuB_X2_I0+1], v[vgprLocalReadAddrB] offset:4352 // L -> Reg lro=2048 swapByteOffset=0 ti=64 vIdx=0 rIdx=2 oIdx=0 buffer=2 iui=0
_ds_load_u16_d16_hi v[vgprValuB_X2_I0_D1+1], v[vgprLocalReadAddrB] offset:4480 // L -> Reg lro=2048 swapByteOffset=0 ti=64 vIdx=0 rIdx=3 oIdx=0 buffer=2 iui=0
v_mfma_f32_32x32x8_f16 a[16+0:31+0], v[vgprValuB_X1_I0+0+0+0:vgprValuB_X1_I0+0+0+0+1], v[vgprValuA_X1_I0+2+0+0:vgprValuA_X1_I0+2+0+0+1], a[16:31]
/* numPrefetchIter=0 */
/* dataAtIterA=0 numReadsIterA=2 skipReadsIterA=1 readsPerIterA=4 */
/* dataAtIterB=0 numReadsIterB=2 skipReadsIterB=1 readsPerIterB=4 */


/* iter 2 (last unrolled loop) */

/*  grEndMfmaIndex:0, lwStartMfmaIndex:4, lwEndMfmaIndex:4  */
/*  numMfmaForLR:1, barrierMfmaIndex:6, LocalWritePerMfma:4.000 */
/*  mfmaIndex:4  */
_ds_load_b32 v[vgprValuA_X3_I0_D0+0], v[vgprLocalReadAddrA] offset:6144 // L -> Reg lro=3072 swapByteOffset=0 ti=64 vIdx=0 rIdx=0 oIdx=0 buffer=3 iui=0
_ds_load_b32 v[vgprValuA_X3_I0_D1+0], v[vgprLocalReadAddrA] offset:6272 // L -> Reg lro=3072 swapByteOffset=0 ti=64 vIdx=0 rIdx=1 oIdx=0 buffer=3 iui=0
_ds_load_b32 v[vgprValuA_X3_I0_D2+0], v[vgprLocalReadAddrA] offset:6400 // L -> Reg lro=3072 swapByteOffset=0 ti=64 vIdx=0 rIdx=2 oIdx=0 buffer=3 iui=0
_ds_load_b32 v[vgprValuA_X3_I0_D3+0], v[vgprLocalReadAddrA] offset:6528 // L -> Reg lro=3072 swapByteOffset=0 ti=64 vIdx=0 rIdx=3 oIdx=0 buffer=3 iui=0
s_waitcnt lgkmcnt(4)                               // lgkmcnt=0 vmcnt=-1wait for prior local read local write old=0, new=4 newLW=0 newLR=4
/* pack scheduling: packAIdx:2, packBIdx:2 */
v_perm_b32 v[vgprValuA_X2_I0+0], v[vgprValuA_X2_I0_D1+0], v[vgprValuA_X2_I0_D0+0], s[sgprPackKForV0] // select K=01 for vector=0
v_perm_b32 v[vgprValuA_X2_I0+1], v[vgprValuA_X2_I0_D3+0], v[vgprValuA_X2_I0_D2+0], s[sgprPackKForV0] // select K=23 for vector=0
v_or_b32 v[vgprValuB_X2_I0+0], v[vgprValuB_X2_I0+0], v[vgprValuB_X2_I0_D1+0] // pack two half Vgpr to one Vgpr
v_or_b32 v[vgprValuB_X2_I0+1], v[vgprValuB_X2_I0+1], v[vgprValuB_X2_I0_D1+1] // pack two half Vgpr to one Vgpr
v_perm_b32 v[vgprValuA_X2_I0+2], v[vgprValuA_X2_I0_D1+0], v[vgprValuA_X2_I0_D0+0], s[sgprPackKForV1] // select K=01 for vector=1
v_perm_b32 v[vgprValuA_X2_I0+3], v[vgprValuA_X2_I0_D3+0], v[vgprValuA_X2_I0_D2+0], s[sgprPackKForV1] // select K=23 for vector=1
v_mfma_f32_32x32x8_f16 a[0+0:15+0], v[vgprValuB_X2_I0+0+0+0:vgprValuB_X2_I0+0+0+0+1], v[vgprValuA_X2_I0+0+0+0:vgprValuA_X2_I0+0+0+0+1], a[0:15]
/*  mfmaIndex:5  */
_ds_load_u16 v[vgprValuB_X3_I0+0], v[vgprLocalReadAddrB] offset:6144 // L -> Reg lro=3072 swapByteOffset=0 ti=64 vIdx=0 rIdx=0 oIdx=0 buffer=3 iui=0
_ds_load_u16_d16_hi v[vgprValuB_X3_I0_D1+0], v[vgprLocalReadAddrB] offset:6272 // L -> Reg lro=3072 swapByteOffset=0 ti=64 vIdx=0 rIdx=1 oIdx=0 buffer=3 iui=0
_ds_load_u16 v[vgprValuB_X3_I0+1], v[vgprLocalReadAddrB] offset:6400 // L -> Reg lro=3072 swapByteOffset=0 ti=64 vIdx=0 rIdx=2 oIdx=0 buffer=3 iui=0
_ds_load_u16_d16_hi v[vgprValuB_X3_I0_D1+1], v[vgprLocalReadAddrB] offset:6528 // L -> Reg lro=3072 swapByteOffset=0 ti=64 vIdx=0 rIdx=3 oIdx=0 buffer=3 iui=0
v_mfma_f32_32x32x8_f16 a[16+0:31+0], v[vgprValuB_X2_I0+0+0+0:vgprValuB_X2_I0+0+0+0+1], v[vgprValuA_X2_I0+2+0+0:vgprValuA_X2_I0+2+0+0+1], a[16:31]
/* numPrefetchIter=0 */
/* dataAtIterA=1 numReadsIterA=3 skipReadsIterA=1 readsPerIterA=4 */
/* dataAtIterB=1 numReadsIterB=3 skipReadsIterB=1 readsPerIterB=4 */


/* iter 3 (last unrolled loop) */

/*  grEndMfmaIndex:0, lwStartMfmaIndex:4, lwEndMfmaIndex:4  */
/*  numMfmaForLR:1, barrierMfmaIndex:6, LocalWritePerMfma:4.000 */
/*  mfmaIndex:6  */
s_waitcnt lgkmcnt(0)                               // lgkmcnt=0 vmcnt=-1wait for prior local read local write old=0, new=0 newLW=0 newLR=0
/* pack scheduling: packAIdx:2, packBIdx:2 */
v_perm_b32 v[vgprValuA_X3_I0+0], v[vgprValuA_X3_I0_D1+0], v[vgprValuA_X3_I0_D0+0], s[sgprPackKForV0] // select K=01 for vector=0
v_perm_b32 v[vgprValuA_X3_I0+1], v[vgprValuA_X3_I0_D3+0], v[vgprValuA_X3_I0_D2+0], s[sgprPackKForV0] // select K=23 for vector=0
v_or_b32 v[vgprValuB_X3_I0+0], v[vgprValuB_X3_I0+0], v[vgprValuB_X3_I0_D1+0] // pack two half Vgpr to one Vgpr
v_or_b32 v[vgprValuB_X3_I0+1], v[vgprValuB_X3_I0+1], v[vgprValuB_X3_I0_D1+1] // pack two half Vgpr to one Vgpr
v_perm_b32 v[vgprValuA_X3_I0+2], v[vgprValuA_X3_I0_D1+0], v[vgprValuA_X3_I0_D0+0], s[sgprPackKForV1] // select K=01 for vector=1
v_perm_b32 v[vgprValuA_X3_I0+3], v[vgprValuA_X3_I0_D3+0], v[vgprValuA_X3_I0_D2+0], s[sgprPackKForV1] // select K=23 for vector=1
v_mfma_f32_32x32x8_f16 a[0+0:15+0], v[vgprValuB_X3_I0+0+0+0:vgprValuB_X3_I0+0+0+0+1], v[vgprValuA_X3_I0+0+0+0:vgprValuA_X3_I0+0+0+0+1], a[0:15]
/*  mfmaIndex:7  */
v_mfma_f32_32x32x8_f16 a[16+0:31+0], v[vgprValuB_X3_I0+0+0+0:vgprValuB_X3_I0+0+0+0+1], v[vgprValuA_X3_I0+2+0+0:vgprValuA_X3_I0+2+0+0+1], a[16:31]
/* numPrefetchIter=0 */
/* dataAtIterA=2 numReadsIterA=3 skipReadsIterA=0 readsPerIterA=4 */
/* dataAtIterB=2 numReadsIterB=3 skipReadsIterB=0 readsPerIterB=4 */

PrefetchGlobalLastIterEnd_5:


/******************************************/
/* Tail Loop                              */
/******************************************/


/* local write reset offsets a */


v_and_b32 v[vgprLocalWriteAddrA], 0xf03fff, v[vgprLocalWriteAddrA] // reset to Red


/* local write reset offsets b */


v_and_b32 v[vgprLocalWriteAddrB], 0xf03fff, v[vgprLocalWriteAddrB] // reset to Red


//numIterL = (((sizeL % LOCAL_DEPTHU) + LOCAL_SPLITU - 1) / LOCAL_SPLITU)
s_and_b32 s[sgprLoopCounterL], 63, s[sgprSizesSum+0] // s[sgprLoopCounterL] = s[sgprSizesSum+0] % 64
s_cmp_eq_u32 s[sgprLoopCounterL], 0x0              // numIterL == 0
s_cbranch_scc1 SkipTailLoopL_8                     // skip to end of tail loop b/c numIter==0
s_mov_b32 s[sgprOrigLoopCounter], 0                // repurpose to count each localRead increment


/* Update M0 for DTLDS */


	;; [unrolled: 1-line block ×3, first 2 shown]
/* global read a */

/* g2l=0, load component 0 */
_buffer_load_d16_b16 v[vgprG2LA+0+0], v[vgprGlobalReadOffsetA+0], s[sgprSrdA:sgprSrdA+3], 0, offen offset:0 // load one buffer value
/* g2l=0, load component 1 */
_buffer_load_d16_hi_b16 v93, v[vgprGlobalReadOffsetA+0], s[sgprSrdA:sgprSrdA+3], 0, offen offset:2 // load one buffer value
s_waitcnt vmcnt(0)
v_or_b32 v[vgprG2LA+0+0], v[vgprG2LA+0+0], v93 // HasEccHalf: pack
/* g2l=0, load component 2 */
_buffer_load_d16_b16 v[vgprG2LA+0+1], v[vgprGlobalReadOffsetA+0], s[sgprSrdA:sgprSrdA+3], 0, offen offset:4 // load one buffer value
/* g2l=0, load component 3 */
_buffer_load_d16_hi_b16 v93, v[vgprGlobalReadOffsetA+0], s[sgprSrdA:sgprSrdA+3], 0, offen offset:6 // load one buffer value
s_waitcnt vmcnt(0)
v_or_b32 v[vgprG2LA+0+1], v[vgprG2LA+0+1], v93 // HasEccHalf: pack
	;; [unrolled: 6-line block ×8, first 2 shown]


/* Update M0 for DTLDS */



/* global read b */

/* g2l=0, load component 0 */
_buffer_load_d16_b16 v[vgprG2LB+0+0], v[vgprGlobalReadOffsetB+0], s[sgprSrdB:sgprSrdB+3], 0, offen offset:0 // load one buffer value
/* g2l=0, load component 1 */
_buffer_load_d16_hi_b16 v93, v[vgprGlobalReadOffsetB+0], s[sgprSrdB:sgprSrdB+3], 0, offen offset:2 // load one buffer value
s_waitcnt vmcnt(0)
v_or_b32 v[vgprG2LB+0+0], v[vgprG2LB+0+0], v93 // HasEccHalf: pack
/* g2l=0, load component 2 */
_buffer_load_d16_b16 v[vgprG2LB+0+1], v[vgprGlobalReadOffsetB+0], s[sgprSrdB:sgprSrdB+3], 0, offen offset:4 // load one buffer value
/* g2l=0, load component 3 */
_buffer_load_d16_hi_b16 v93, v[vgprGlobalReadOffsetB+0], s[sgprSrdB:sgprSrdB+3], 0, offen offset:6 // load one buffer value
s_waitcnt vmcnt(0)
v_or_b32 v[vgprG2LB+0+1], v[vgprG2LB+0+1], v93 // HasEccHalf: pack
	;; [unrolled: 6-line block ×8, first 2 shown]

s_waitcnt vmcnt(0)                                 // lgkmcnt=-1 vmcnt=02wait for global read

// Skip force waitcnt0
s_barrier //


/* Done global A/B reads */


	;; [unrolled: 1-line block ×4, first 2 shown]
/* local write a */

_ds_store_b128 v[vgprLocalWriteAddrA], v[vgprG2LA+0:vgprG2LA+0+3] offset:0 // lwoA_0_0_0_0 = (0*LSCA) + (0*LSPA)(*MT0I+PAD) = 0
_ds_store_b128 v[vgprLocalWriteAddrA], v[vgprG2LA+4:vgprG2LA+4+3] offset:1024 // lwoA_0_0_1_0 = (0*LSCA) + (1*LSPA)(*MT0I+PAD) = 1024


/* local write b */

_ds_store_b128 v[vgprLocalWriteAddrB], v[vgprG2LB+0:vgprG2LB+0+3] offset:0 // lwoB_0_0_0_0 = (0*LSCB) + (0*LSPB)(*MT1J+PAD) = 0
_ds_store_b128 v[vgprLocalWriteAddrB], v[vgprG2LB+4:vgprG2LB+4+3] offset:4096 // lwoB_0_0_1_0 = (0*LSCB) + (1*LSPB)(*MT1J+PAD) = 4096


/* Recalc local read offsets */


s_waitcnt lgkmcnt(0)                               // lgkmcnt=0 vmcnt=-15wait for local write

// Skip force waitcnt0
s_barrier //


/* local read reset offsets a */


/* localReadResetOffsets */
/* handled internally */
v_and_b32 v[vgprLocalReadAddrA], 0x3fff, v[vgprLocalReadAddrA] // reset Red,Blk -> Red


/* local read reset offsets b */


/* localReadResetOffsets */
/* handled internally */
v_and_b32 v[vgprLocalReadAddrB], 0x3fff, v[vgprLocalReadAddrB] // reset Red,Blk -> Red


/* local read init pointers a */


/* localReadInitPointers */


/* local read init pointers b */


/* localReadInitPointers */


/* tail loop: macs */

TailLoopBeginL_6:


/* local read a */

_ds_load_b32 v[vgprValuA_X0_I0_D0+0], v[vgprLocalReadAddrA] offset:0 // L -> Reg lro=0 swapByteOffset=0 ti=64 vIdx=0 rIdx=0 oIdx=0 buffer=0 iui=0
_ds_load_b32 v[vgprValuA_X0_I0_D1+0], v[vgprLocalReadAddrA] offset:128 // L -> Reg lro=0 swapByteOffset=0 ti=64 vIdx=0 rIdx=1 oIdx=0 buffer=0 iui=0
_ds_load_b32 v[vgprValuA_X0_I0_D2+0], v[vgprLocalReadAddrA] offset:256 // L -> Reg lro=0 swapByteOffset=0 ti=64 vIdx=0 rIdx=2 oIdx=0 buffer=0 iui=0
_ds_load_b32 v[vgprValuA_X0_I0_D3+0], v[vgprLocalReadAddrA] offset:384 // L -> Reg lro=0 swapByteOffset=0 ti=64 vIdx=0 rIdx=3 oIdx=0 buffer=0 iui=0


/* local read b */

_ds_load_u16 v[vgprValuB_X0_I0+0], v[vgprLocalReadAddrB] offset:0 // L -> Reg lro=0 swapByteOffset=0 ti=64 vIdx=0 rIdx=0 oIdx=0 buffer=0 iui=0
_ds_load_u16_d16_hi v[vgprValuB_X0_I0_D1+0], v[vgprLocalReadAddrB] offset:128 // L -> Reg lro=0 swapByteOffset=0 ti=64 vIdx=0 rIdx=1 oIdx=0 buffer=0 iui=0
_ds_load_u16 v[vgprValuB_X0_I0+1], v[vgprLocalReadAddrB] offset:256 // L -> Reg lro=0 swapByteOffset=0 ti=64 vIdx=0 rIdx=2 oIdx=0 buffer=0 iui=0
_ds_load_u16_d16_hi v[vgprValuB_X0_I0_D1+1], v[vgprLocalReadAddrB] offset:384 // L -> Reg lro=0 swapByteOffset=0 ti=64 vIdx=0 rIdx=3 oIdx=0 buffer=0 iui=0


/* local read inc a */

s_mov_b32 s33, 0x800                               // inc
_v_add_co_u32 v[vgprLocalReadAddrA], vcc, s33, v[vgprLocalReadAddrA] // lrA += 2048 (LSU*(MT+PAD)*bpe)


/* local read inc b */

s_mov_b32 s33, 0x800                               // inc
_v_add_co_u32 v[vgprLocalReadAddrB], vcc, s33, v[vgprLocalReadAddrB] // lrB += 2048 (LSU*(MT+PAD)*bpe)

s_waitcnt lgkmcnt(0)                               // lgkmcnt=0 vmcnt=-14wait for local read

v_perm_b32 v[vgprValuA_X0_I0+0], v[vgprValuA_X0_I0_D1+0], v[vgprValuA_X0_I0_D0+0], s[sgprPackKForV0] // select K=01 for vector=0
v_perm_b32 v[vgprValuA_X0_I0+1], v[vgprValuA_X0_I0_D3+0], v[vgprValuA_X0_I0_D2+0], s[sgprPackKForV0] // select K=23 for vector=0
v_perm_b32 v[vgprValuA_X0_I0+2], v[vgprValuA_X0_I0_D1+0], v[vgprValuA_X0_I0_D0+0], s[sgprPackKForV1] // select K=01 for vector=1
v_perm_b32 v[vgprValuA_X0_I0+3], v[vgprValuA_X0_I0_D3+0], v[vgprValuA_X0_I0_D2+0], s[sgprPackKForV1] // select K=23 for vector=1
v_or_b32 v[vgprValuB_X0_I0+0], v[vgprValuB_X0_I0+0], v[vgprValuB_X0_I0_D1+0] // pack two half Vgpr to one Vgpr
v_or_b32 v[vgprValuB_X0_I0+1], v[vgprValuB_X0_I0+1], v[vgprValuB_X0_I0_D1+1] // pack two half Vgpr to one Vgpr

s_nop 1
v_mfma_f32_32x32x8_f16 a[0+0:15+0], v[vgprValuB_X0_I0+0+0+0:vgprValuB_X0_I0+0+0+0+1], v[vgprValuA_X0_I0+0+0+0:vgprValuA_X0_I0+0+0+0+1], a[0:15]
v_mfma_f32_32x32x8_f16 a[16+0:31+0], v[vgprValuB_X0_I0+0+0+0:vgprValuB_X0_I0+0+0+0+1], v[vgprValuA_X0_I0+2+0+0:vgprValuA_X0_I0+2+0+0+1], a[16:31]


/* closeLoop loopL finalLoop=1 tailLoop=1 */
s_sub_i32 s[sgprLoopCounterL], s[sgprLoopCounterL], 0x10 // dec counterL (tailLoop)
s_add_u32 s[sgprOrigLoopCounter], s[sgprOrigLoopCounter], 0x10 // inc counterL
s_cmp_le_i32 s[sgprLoopCounterL], 0x0              // counterL<=0
s_cbranch_scc0 TailLoopBeginL_6                    // restart LoopL
TailLoopEndL_7:

SkipTailLoopL_8:

Summation_End_19:
/* endSummation: add vgpr [32...90) to pool */
.set NumFullBlocks, UNDEF
.set WgmRemainder1, UNDEF
.set MagicNumberWgmRemainder1, UNDEF

/* Mapping of Acc register -> C Vgpr register */


/* shift vector components d0 */

v_mov_b32 v33, s[sgprWorkGroup0]                   // 
v_mul_i32_i24 v33, -0x40, v33                      // wg*MT
_v_add_co_u32 v33, vcc, s[sgprSizesFree+0], v33    // wgMT = Size - wg*MT
v_mov_b32 v34, 0x40                                // MT
v_min_u32 v33, v34, v33                            // wgMT = (wgMT < MT) ? wgMT : MT
v_lshrrev_b32 v32, 6, v[vgprSerial]                // v32 = v[vgprSerial] / 64
v_and_b32 v35, 0, v32                              // v35 = v32 % 1
v_lshrrev_b32 v32, 6, v33                          // v32 = v33 / 64
v_and_b32 v36, 0, v32                              // v36 = v32 % 1
v_cmp_eq_u32 s[34:35], v36, v35                    // wave_id == block_belong_to_wave?
v_cndmask_b32 v33, v34, v33, s[34:35]              // wgMT = (wgMT < MT) ? wgMT : MT

/* mbReg: which mb block need to shift, mb(matrixInstCoal(32) * VectorWidth(2)) */
v_lshrrev_b32 v34, 6, v33                          // v34 = v33 / 64
v_lshlrev_b32 v36, 0x0, v35                        // v36 = v35 * 1
_v_sub_u32 v34, v34, v36                           // 

/* gbReg: glvw block id */
v_lshrrev_b32 v36, 3, v33                          // v36 = v33 / 8

/* tgbReg: glvw block id */
v_lshrrev_b32 v32, 0, v[vgprSerial]                // v32 = v[vgprSerial] / 1
v_and_b32 v37, 31, v32                             // v37 = v32 % 32
v_lshlrev_b32 v37, 0x1, v37                        // v37 = v37 * 2
v_lshrrev_b32 v37, 3, v37                          // v37 = v37 / 8
v_lshlrev_b32 v35, 0x3, v35                        // v35 = v35 * 8
_v_add_co_u32 v37, vcc, v35, v37                   // tgbReg = (tid_coal * continOut) / GLVW
_v_sub_u32 v36, v36, v37                           // 

/* vwReg: glvw in which vw block? */
v_and_b32 v35, 1, v33                              // permute register between threads
v_lshrrev_b32 v35, 3, v35                          // permute register between threads

/* rReg : reminder of M_size % GlobalLoadVectorWidth */
v_and_b32 v37, 7, v33                              // v37 = v33 % 8
v_cmp_eq_u32 vcc, v37, 0x1                         // wgMT%VW == 1
s_cbranch_vccnz label_0020                         // branch to shift d0 r=1
v_cmp_eq_u32 vcc, v37, 0x2                         // wgMT%VW == 2
s_cbranch_vccnz label_0023                         // branch to shift d0 r=2
v_cmp_eq_u32 vcc, v37, 0x3                         // wgMT%VW == 3
s_cbranch_vccnz label_0026                         // branch to shift d0 r=3
v_cmp_eq_u32 vcc, v37, 0x4                         // wgMT%VW == 4
s_cbranch_vccnz label_0029                         // branch to shift d0 r=4
v_cmp_eq_u32 vcc, v37, 0x5                         // wgMT%VW == 5
s_cbranch_vccnz label_0032                         // branch to shift d0 r=5
v_cmp_eq_u32 vcc, v37, 0x6                         // wgMT%VW == 6
s_cbranch_vccnz label_0035                         // branch to shift d0 r=6
v_cmp_eq_u32 vcc, v37, 0x7                         // wgMT%VW == 7
s_cbranch_vccnz label_0038                         // branch to shift d0 r=7
s_branch label_0041                                // no shifting

/******************************************/
/* shift d0 r=1                           */
/******************************************/
label_0020:
v_cmp_eq_u32 vcc, v34, 0x0                         // 
s_cbranch_vccnz label_0021                         // branch to shift d0 r1 mb0

/******************************************/
/* shift d0 r=2                           */
/******************************************/
label_0023:
v_cmp_eq_u32 vcc, v34, 0x0                         // 
s_cbranch_vccnz label_0024                         // branch to shift d0 r2 mb0

/******************************************/
/* shift d0 r=3                           */
/******************************************/
label_0026:
v_cmp_eq_u32 vcc, v34, 0x0                         // 
s_cbranch_vccnz label_0027                         // branch to shift d0 r3 mb0

/******************************************/
/* shift d0 r=4                           */
/******************************************/
label_0029:
v_cmp_eq_u32 vcc, v34, 0x0                         // 
s_cbranch_vccnz label_0030                         // branch to shift d0 r4 mb0

/******************************************/
/* shift d0 r=5                           */
/******************************************/
label_0032:
v_cmp_eq_u32 vcc, v34, 0x0                         // 
s_cbranch_vccnz label_0033                         // branch to shift d0 r5 mb0

/******************************************/
/* shift d0 r=6                           */
/******************************************/
label_0035:
v_cmp_eq_u32 vcc, v34, 0x0                         // 
s_cbranch_vccnz label_0036                         // branch to shift d0 r6 mb0

/******************************************/
/* shift d0 r=7                           */
/******************************************/
label_0038:
v_cmp_eq_u32 vcc, v34, 0x0                         // 
s_cbranch_vccnz label_0039                         // branch to shift d0 r7 mb0

/******************************************/
/* shift d0 r=1 mb=0                      */
/******************************************/
label_0021: // r1 mb0 
v_cmp_eq_u32 vcc, v35, 0x0                         // 
s_cbranch_vccnz label_0022                         // branch to shift d0 r1 mb0 vw0

/******************************************/
/* shift d0 r=2 mb=0                      */
/******************************************/
label_0024: // r2 mb0 
v_cmp_eq_u32 vcc, v35, 0x0                         // 
s_cbranch_vccnz label_0025                         // branch to shift d0 r2 mb0 vw0

/******************************************/
/* shift d0 r=3 mb=0                      */
/******************************************/
label_0027: // r3 mb0 
v_cmp_eq_u32 vcc, v35, 0x0                         // 
s_cbranch_vccnz label_0028                         // branch to shift d0 r3 mb0 vw0

/******************************************/
/* shift d0 r=4 mb=0                      */
/******************************************/
label_0030: // r4 mb0 
v_cmp_eq_u32 vcc, v35, 0x0                         // 
s_cbranch_vccnz label_0031                         // branch to shift d0 r4 mb0 vw0

/******************************************/
/* shift d0 r=5 mb=0                      */
/******************************************/
label_0033: // r5 mb0 
v_cmp_eq_u32 vcc, v35, 0x0                         // 
s_cbranch_vccnz label_0034                         // branch to shift d0 r5 mb0 vw0

/******************************************/
/* shift d0 r=6 mb=0                      */
/******************************************/
label_0036: // r6 mb0 
v_cmp_eq_u32 vcc, v35, 0x0                         // 
s_cbranch_vccnz label_0037                         // branch to shift d0 r6 mb0 vw0

/******************************************/
/* shift d0 r=7 mb=0                      */
/******************************************/
label_0039: // r7 mb0 
v_cmp_eq_u32 vcc, v35, 0x0                         // 
s_cbranch_vccnz label_0040                         // branch to shift d0 r7 mb0 vw0

/******************************************/
/* shift d0 r=1 mb=0 vw0                  */
/******************************************/
label_0022: // r1 mb0 vw0 
s_mov_b32 s34, 0                                   // 
_v_cmpx_eq_u32 s[34:35], v36, s34                  // is thread in edge glvw region
v_and_b32 v32, 63, v[vgprSerial]                   // permute register between threads
v_lshlrev_b32 v32, 2, v32                          // permute register between threads
v_accvgpr_read_b32 v37, acc16                      // glvw 1 mb 0 tt1 0 r 0
s_nop 1                                            // v_accvgpr read vgpr after write vgpr: 2 wait states
ds_bpermute_b32 v37, v32, v37, offset:12           // permute edge values
s_waitcnt 0                                        // wait for swizzle operation
v_accvgpr_write_b32 acc0, v37                      // 
v_accvgpr_read_b32 v37, acc17                      // glvw 1 mb 0 tt1 1 r 0
s_nop 1                                            // v_accvgpr read vgpr after write vgpr: 2 wait states
ds_bpermute_b32 v37, v32, v37, offset:12           // permute edge values
s_waitcnt 0                                        // wait for swizzle operation
v_accvgpr_write_b32 acc1, v37                      // 
v_accvgpr_read_b32 v37, acc18                      // glvw 1 mb 0 tt1 2 r 0
s_nop 1                                            // v_accvgpr read vgpr after write vgpr: 2 wait states
ds_bpermute_b32 v37, v32, v37, offset:12           // permute edge values
s_waitcnt 0                                        // wait for swizzle operation
v_accvgpr_write_b32 acc2, v37                      // 
v_accvgpr_read_b32 v37, acc19                      // glvw 1 mb 0 tt1 3 r 0
s_nop 1                                            // v_accvgpr read vgpr after write vgpr: 2 wait states
ds_bpermute_b32 v37, v32, v37, offset:12           // permute edge values
s_waitcnt 0                                        // wait for swizzle operation
v_accvgpr_write_b32 acc3, v37                      // 
v_accvgpr_read_b32 v37, acc20                      // glvw 1 mb 0 tt1 4 r 0
s_nop 1                                            // v_accvgpr read vgpr after write vgpr: 2 wait states
ds_bpermute_b32 v37, v32, v37, offset:12           // permute edge values
s_waitcnt 0                                        // wait for swizzle operation
v_accvgpr_write_b32 acc4, v37                      // 
v_accvgpr_read_b32 v37, acc21                      // glvw 1 mb 0 tt1 5 r 0
s_nop 1                                            // v_accvgpr read vgpr after write vgpr: 2 wait states
ds_bpermute_b32 v37, v32, v37, offset:12           // permute edge values
s_waitcnt 0                                        // wait for swizzle operation
v_accvgpr_write_b32 acc5, v37                      // 
v_accvgpr_read_b32 v37, acc22                      // glvw 1 mb 0 tt1 6 r 0
s_nop 1                                            // v_accvgpr read vgpr after write vgpr: 2 wait states
ds_bpermute_b32 v37, v32, v37, offset:12           // permute edge values
s_waitcnt 0                                        // wait for swizzle operation
v_accvgpr_write_b32 acc6, v37                      // 
v_accvgpr_read_b32 v37, acc23                      // glvw 1 mb 0 tt1 7 r 0
s_nop 1                                            // v_accvgpr read vgpr after write vgpr: 2 wait states
ds_bpermute_b32 v37, v32, v37, offset:12           // permute edge values
s_waitcnt 0                                        // wait for swizzle operation
v_accvgpr_write_b32 acc7, v37                      // 
v_accvgpr_read_b32 v37, acc24                      // glvw 1 mb 0 tt1 8 r 0
s_nop 1                                            // v_accvgpr read vgpr after write vgpr: 2 wait states
ds_bpermute_b32 v37, v32, v37, offset:12           // permute edge values
s_waitcnt 0                                        // wait for swizzle operation
v_accvgpr_write_b32 acc8, v37                      // 
v_accvgpr_read_b32 v37, acc25                      // glvw 1 mb 0 tt1 9 r 0
s_nop 1                                            // v_accvgpr read vgpr after write vgpr: 2 wait states
ds_bpermute_b32 v37, v32, v37, offset:12           // permute edge values
s_waitcnt 0                                        // wait for swizzle operation
v_accvgpr_write_b32 acc9, v37                      // 
v_accvgpr_read_b32 v37, acc26                      // glvw 1 mb 0 tt1 10 r 0
s_nop 1                                            // v_accvgpr read vgpr after write vgpr: 2 wait states
ds_bpermute_b32 v37, v32, v37, offset:12           // permute edge values
s_waitcnt 0                                        // wait for swizzle operation
v_accvgpr_write_b32 acc10, v37                     // 
v_accvgpr_read_b32 v37, acc27                      // glvw 1 mb 0 tt1 11 r 0
s_nop 1                                            // v_accvgpr read vgpr after write vgpr: 2 wait states
ds_bpermute_b32 v37, v32, v37, offset:12           // permute edge values
s_waitcnt 0                                        // wait for swizzle operation
v_accvgpr_write_b32 acc11, v37                     // 
v_accvgpr_read_b32 v37, acc28                      // glvw 1 mb 0 tt1 12 r 0
s_nop 1                                            // v_accvgpr read vgpr after write vgpr: 2 wait states
ds_bpermute_b32 v37, v32, v37, offset:12           // permute edge values
s_waitcnt 0                                        // wait for swizzle operation
v_accvgpr_write_b32 acc12, v37                     // 
v_accvgpr_read_b32 v37, acc29                      // glvw 1 mb 0 tt1 13 r 0
s_nop 1                                            // v_accvgpr read vgpr after write vgpr: 2 wait states
ds_bpermute_b32 v37, v32, v37, offset:12           // permute edge values
s_waitcnt 0                                        // wait for swizzle operation
v_accvgpr_write_b32 acc13, v37                     // 
v_accvgpr_read_b32 v37, acc30                      // glvw 1 mb 0 tt1 14 r 0
s_nop 1                                            // v_accvgpr read vgpr after write vgpr: 2 wait states
ds_bpermute_b32 v37, v32, v37, offset:12           // permute edge values
s_waitcnt 0                                        // wait for swizzle operation
v_accvgpr_write_b32 acc14, v37                     // 
v_accvgpr_read_b32 v37, acc31                      // glvw 1 mb 0 tt1 15 r 0
s_nop 1                                            // v_accvgpr read vgpr after write vgpr: 2 wait states
ds_bpermute_b32 v37, v32, v37, offset:12           // permute edge values
s_waitcnt 0                                        // wait for swizzle operation
v_accvgpr_write_b32 acc15, v37                     // 
s_mov_b64 s[34:35], 0xFFFFFFFFFFFFFFFF             // to restore all threads active
s_or_saveexec_b64 vcc, s[34:35]                    // all threads active
s_branch label_0041                                // done shifting


/******************************************/
/* shift d0 r=2 mb=0 vw0                  */
/******************************************/
label_0025: // r2 mb0 vw0 
s_mov_b32 s34, 0                                   // 
_v_cmpx_eq_u32 s[34:35], v36, s34                  // is thread in edge glvw region
v_and_b32 v32, 63, v[vgprSerial]                   // permute register between threads
v_lshlrev_b32 v32, 2, v32                          // permute register between threads
v_accvgpr_read_b32 v37, acc0                       // glvw 2 mb 0 tt1 0 r 0
v_accvgpr_read_b32 v38, acc16                      // glvw 2 mb 0 tt1 0 r 0
s_nop 1                                            // v_accvgpr read vgpr after write vgpr: 2 wait states
ds_bpermute_b32 v37, v32, v37, offset:12           // permute edge values
ds_bpermute_b32 v38, v32, v38, offset:12           // permute edge values
s_waitcnt 0                                        // wait for swizzle operation
v_accvgpr_write_b32 acc0, v37                      // 
v_accvgpr_write_b32 acc16, v38                     // 
v_accvgpr_read_b32 v37, acc1                       // glvw 2 mb 0 tt1 1 r 0
v_accvgpr_read_b32 v38, acc17                      // glvw 2 mb 0 tt1 1 r 0
s_nop 1                                            // v_accvgpr read vgpr after write vgpr: 2 wait states
ds_bpermute_b32 v37, v32, v37, offset:12           // permute edge values
ds_bpermute_b32 v38, v32, v38, offset:12           // permute edge values
s_waitcnt 0                                        // wait for swizzle operation
v_accvgpr_write_b32 acc1, v37                      // 
v_accvgpr_write_b32 acc17, v38                     // 
v_accvgpr_read_b32 v37, acc2                       // glvw 2 mb 0 tt1 2 r 0
v_accvgpr_read_b32 v38, acc18                      // glvw 2 mb 0 tt1 2 r 0
s_nop 1                                            // v_accvgpr read vgpr after write vgpr: 2 wait states
ds_bpermute_b32 v37, v32, v37, offset:12           // permute edge values
ds_bpermute_b32 v38, v32, v38, offset:12           // permute edge values
s_waitcnt 0                                        // wait for swizzle operation
v_accvgpr_write_b32 acc2, v37                      // 
v_accvgpr_write_b32 acc18, v38                     // 
v_accvgpr_read_b32 v37, acc3                       // glvw 2 mb 0 tt1 3 r 0
v_accvgpr_read_b32 v38, acc19                      // glvw 2 mb 0 tt1 3 r 0
s_nop 1                                            // v_accvgpr read vgpr after write vgpr: 2 wait states
ds_bpermute_b32 v37, v32, v37, offset:12           // permute edge values
ds_bpermute_b32 v38, v32, v38, offset:12           // permute edge values
s_waitcnt 0                                        // wait for swizzle operation
v_accvgpr_write_b32 acc3, v37                      // 
v_accvgpr_write_b32 acc19, v38                     // 
v_accvgpr_read_b32 v37, acc4                       // glvw 2 mb 0 tt1 4 r 0
v_accvgpr_read_b32 v38, acc20                      // glvw 2 mb 0 tt1 4 r 0
s_nop 1                                            // v_accvgpr read vgpr after write vgpr: 2 wait states
ds_bpermute_b32 v37, v32, v37, offset:12           // permute edge values
ds_bpermute_b32 v38, v32, v38, offset:12           // permute edge values
s_waitcnt 0                                        // wait for swizzle operation
v_accvgpr_write_b32 acc4, v37                      // 
v_accvgpr_write_b32 acc20, v38                     // 
v_accvgpr_read_b32 v37, acc5                       // glvw 2 mb 0 tt1 5 r 0
v_accvgpr_read_b32 v38, acc21                      // glvw 2 mb 0 tt1 5 r 0
s_nop 1                                            // v_accvgpr read vgpr after write vgpr: 2 wait states
ds_bpermute_b32 v37, v32, v37, offset:12           // permute edge values
ds_bpermute_b32 v38, v32, v38, offset:12           // permute edge values
s_waitcnt 0                                        // wait for swizzle operation
v_accvgpr_write_b32 acc5, v37                      // 
v_accvgpr_write_b32 acc21, v38                     // 
v_accvgpr_read_b32 v37, acc6                       // glvw 2 mb 0 tt1 6 r 0
v_accvgpr_read_b32 v38, acc22                      // glvw 2 mb 0 tt1 6 r 0
s_nop 1                                            // v_accvgpr read vgpr after write vgpr: 2 wait states
ds_bpermute_b32 v37, v32, v37, offset:12           // permute edge values
ds_bpermute_b32 v38, v32, v38, offset:12           // permute edge values
s_waitcnt 0                                        // wait for swizzle operation
v_accvgpr_write_b32 acc6, v37                      // 
v_accvgpr_write_b32 acc22, v38                     // 
v_accvgpr_read_b32 v37, acc7                       // glvw 2 mb 0 tt1 7 r 0
v_accvgpr_read_b32 v38, acc23                      // glvw 2 mb 0 tt1 7 r 0
s_nop 1                                            // v_accvgpr read vgpr after write vgpr: 2 wait states
ds_bpermute_b32 v37, v32, v37, offset:12           // permute edge values
ds_bpermute_b32 v38, v32, v38, offset:12           // permute edge values
s_waitcnt 0                                        // wait for swizzle operation
v_accvgpr_write_b32 acc7, v37                      // 
v_accvgpr_write_b32 acc23, v38                     // 
v_accvgpr_read_b32 v37, acc8                       // glvw 2 mb 0 tt1 8 r 0
v_accvgpr_read_b32 v38, acc24                      // glvw 2 mb 0 tt1 8 r 0
s_nop 1                                            // v_accvgpr read vgpr after write vgpr: 2 wait states
ds_bpermute_b32 v37, v32, v37, offset:12           // permute edge values
ds_bpermute_b32 v38, v32, v38, offset:12           // permute edge values
s_waitcnt 0                                        // wait for swizzle operation
v_accvgpr_write_b32 acc8, v37                      // 
v_accvgpr_write_b32 acc24, v38                     // 
v_accvgpr_read_b32 v37, acc9                       // glvw 2 mb 0 tt1 9 r 0
v_accvgpr_read_b32 v38, acc25                      // glvw 2 mb 0 tt1 9 r 0
s_nop 1                                            // v_accvgpr read vgpr after write vgpr: 2 wait states
ds_bpermute_b32 v37, v32, v37, offset:12           // permute edge values
ds_bpermute_b32 v38, v32, v38, offset:12           // permute edge values
s_waitcnt 0                                        // wait for swizzle operation
v_accvgpr_write_b32 acc9, v37                      // 
v_accvgpr_write_b32 acc25, v38                     // 
v_accvgpr_read_b32 v37, acc10                      // glvw 2 mb 0 tt1 10 r 0
v_accvgpr_read_b32 v38, acc26                      // glvw 2 mb 0 tt1 10 r 0
s_nop 1                                            // v_accvgpr read vgpr after write vgpr: 2 wait states
ds_bpermute_b32 v37, v32, v37, offset:12           // permute edge values
ds_bpermute_b32 v38, v32, v38, offset:12           // permute edge values
s_waitcnt 0                                        // wait for swizzle operation
v_accvgpr_write_b32 acc10, v37                     // 
v_accvgpr_write_b32 acc26, v38                     // 
v_accvgpr_read_b32 v37, acc11                      // glvw 2 mb 0 tt1 11 r 0
v_accvgpr_read_b32 v38, acc27                      // glvw 2 mb 0 tt1 11 r 0
s_nop 1                                            // v_accvgpr read vgpr after write vgpr: 2 wait states
ds_bpermute_b32 v37, v32, v37, offset:12           // permute edge values
ds_bpermute_b32 v38, v32, v38, offset:12           // permute edge values
s_waitcnt 0                                        // wait for swizzle operation
v_accvgpr_write_b32 acc11, v37                     // 
v_accvgpr_write_b32 acc27, v38                     // 
v_accvgpr_read_b32 v37, acc12                      // glvw 2 mb 0 tt1 12 r 0
v_accvgpr_read_b32 v38, acc28                      // glvw 2 mb 0 tt1 12 r 0
s_nop 1                                            // v_accvgpr read vgpr after write vgpr: 2 wait states
ds_bpermute_b32 v37, v32, v37, offset:12           // permute edge values
ds_bpermute_b32 v38, v32, v38, offset:12           // permute edge values
s_waitcnt 0                                        // wait for swizzle operation
v_accvgpr_write_b32 acc12, v37                     // 
v_accvgpr_write_b32 acc28, v38                     // 
v_accvgpr_read_b32 v37, acc13                      // glvw 2 mb 0 tt1 13 r 0
v_accvgpr_read_b32 v38, acc29                      // glvw 2 mb 0 tt1 13 r 0
s_nop 1                                            // v_accvgpr read vgpr after write vgpr: 2 wait states
ds_bpermute_b32 v37, v32, v37, offset:12           // permute edge values
ds_bpermute_b32 v38, v32, v38, offset:12           // permute edge values
s_waitcnt 0                                        // wait for swizzle operation
v_accvgpr_write_b32 acc13, v37                     // 
v_accvgpr_write_b32 acc29, v38                     // 
v_accvgpr_read_b32 v37, acc14                      // glvw 2 mb 0 tt1 14 r 0
v_accvgpr_read_b32 v38, acc30                      // glvw 2 mb 0 tt1 14 r 0
s_nop 1                                            // v_accvgpr read vgpr after write vgpr: 2 wait states
ds_bpermute_b32 v37, v32, v37, offset:12           // permute edge values
ds_bpermute_b32 v38, v32, v38, offset:12           // permute edge values
s_waitcnt 0                                        // wait for swizzle operation
v_accvgpr_write_b32 acc14, v37                     // 
v_accvgpr_write_b32 acc30, v38                     // 
v_accvgpr_read_b32 v37, acc15                      // glvw 2 mb 0 tt1 15 r 0
v_accvgpr_read_b32 v38, acc31                      // glvw 2 mb 0 tt1 15 r 0
s_nop 1                                            // v_accvgpr read vgpr after write vgpr: 2 wait states
ds_bpermute_b32 v37, v32, v37, offset:12           // permute edge values
ds_bpermute_b32 v38, v32, v38, offset:12           // permute edge values
s_waitcnt 0                                        // wait for swizzle operation
v_accvgpr_write_b32 acc15, v37                     // 
v_accvgpr_write_b32 acc31, v38                     // 
s_mov_b64 s[34:35], 0xFFFFFFFFFFFFFFFF             // to restore all threads active
s_or_saveexec_b64 vcc, s[34:35]                    // all threads active
s_branch label_0041                                // done shifting


/******************************************/
/* shift d0 r=3 mb=0 vw0                  */
/******************************************/
label_0028: // r3 mb0 vw0 
s_mov_b32 s34, 0                                   // 
_v_cmpx_eq_u32 s[34:35], v36, s34                  // is thread in edge glvw region
v_and_b32 v32, 63, v[vgprSerial]                   // permute register between threads
v_lshlrev_b32 v32, 2, v32                          // permute register between threads
v_accvgpr_read_b32 v37, acc16                      // glvw 3 mb 0 tt1 0 r 0
v_accvgpr_read_b32 v38, acc0                       // glvw 3 mb 0 tt1 0 r 0
s_nop 1                                            // v_accvgpr read vgpr after write vgpr: 2 wait states
ds_bpermute_b32 v37, v32, v37, offset:8            // permute edge values
ds_bpermute_b32 v38, v32, v38, offset:12           // permute edge values
s_waitcnt 0                                        // wait for swizzle operation
v_accvgpr_write_b32 acc0, v37                      // 
v_accvgpr_write_b32 acc16, v38                     // 
v_accvgpr_read_b32 v37, acc17                      // glvw 3 mb 0 tt1 1 r 0
v_accvgpr_read_b32 v38, acc1                       // glvw 3 mb 0 tt1 1 r 0
s_nop 1                                            // v_accvgpr read vgpr after write vgpr: 2 wait states
ds_bpermute_b32 v37, v32, v37, offset:8            // permute edge values
ds_bpermute_b32 v38, v32, v38, offset:12           // permute edge values
s_waitcnt 0                                        // wait for swizzle operation
v_accvgpr_write_b32 acc1, v37                      // 
v_accvgpr_write_b32 acc17, v38                     // 
v_accvgpr_read_b32 v37, acc18                      // glvw 3 mb 0 tt1 2 r 0
v_accvgpr_read_b32 v38, acc2                       // glvw 3 mb 0 tt1 2 r 0
s_nop 1                                            // v_accvgpr read vgpr after write vgpr: 2 wait states
ds_bpermute_b32 v37, v32, v37, offset:8            // permute edge values
ds_bpermute_b32 v38, v32, v38, offset:12           // permute edge values
s_waitcnt 0                                        // wait for swizzle operation
v_accvgpr_write_b32 acc2, v37                      // 
v_accvgpr_write_b32 acc18, v38                     // 
v_accvgpr_read_b32 v37, acc19                      // glvw 3 mb 0 tt1 3 r 0
v_accvgpr_read_b32 v38, acc3                       // glvw 3 mb 0 tt1 3 r 0
s_nop 1                                            // v_accvgpr read vgpr after write vgpr: 2 wait states
ds_bpermute_b32 v37, v32, v37, offset:8            // permute edge values
ds_bpermute_b32 v38, v32, v38, offset:12           // permute edge values
s_waitcnt 0                                        // wait for swizzle operation
v_accvgpr_write_b32 acc3, v37                      // 
v_accvgpr_write_b32 acc19, v38                     // 
v_accvgpr_read_b32 v37, acc20                      // glvw 3 mb 0 tt1 4 r 0
v_accvgpr_read_b32 v38, acc4                       // glvw 3 mb 0 tt1 4 r 0
s_nop 1                                            // v_accvgpr read vgpr after write vgpr: 2 wait states
ds_bpermute_b32 v37, v32, v37, offset:8            // permute edge values
ds_bpermute_b32 v38, v32, v38, offset:12           // permute edge values
s_waitcnt 0                                        // wait for swizzle operation
v_accvgpr_write_b32 acc4, v37                      // 
v_accvgpr_write_b32 acc20, v38                     // 
v_accvgpr_read_b32 v37, acc21                      // glvw 3 mb 0 tt1 5 r 0
v_accvgpr_read_b32 v38, acc5                       // glvw 3 mb 0 tt1 5 r 0
s_nop 1                                            // v_accvgpr read vgpr after write vgpr: 2 wait states
ds_bpermute_b32 v37, v32, v37, offset:8            // permute edge values
ds_bpermute_b32 v38, v32, v38, offset:12           // permute edge values
s_waitcnt 0                                        // wait for swizzle operation
v_accvgpr_write_b32 acc5, v37                      // 
v_accvgpr_write_b32 acc21, v38                     // 
v_accvgpr_read_b32 v37, acc22                      // glvw 3 mb 0 tt1 6 r 0
v_accvgpr_read_b32 v38, acc6                       // glvw 3 mb 0 tt1 6 r 0
s_nop 1                                            // v_accvgpr read vgpr after write vgpr: 2 wait states
ds_bpermute_b32 v37, v32, v37, offset:8            // permute edge values
ds_bpermute_b32 v38, v32, v38, offset:12           // permute edge values
s_waitcnt 0                                        // wait for swizzle operation
v_accvgpr_write_b32 acc6, v37                      // 
v_accvgpr_write_b32 acc22, v38                     // 
v_accvgpr_read_b32 v37, acc23                      // glvw 3 mb 0 tt1 7 r 0
v_accvgpr_read_b32 v38, acc7                       // glvw 3 mb 0 tt1 7 r 0
s_nop 1                                            // v_accvgpr read vgpr after write vgpr: 2 wait states
ds_bpermute_b32 v37, v32, v37, offset:8            // permute edge values
ds_bpermute_b32 v38, v32, v38, offset:12           // permute edge values
s_waitcnt 0                                        // wait for swizzle operation
v_accvgpr_write_b32 acc7, v37                      // 
v_accvgpr_write_b32 acc23, v38                     // 
v_accvgpr_read_b32 v37, acc24                      // glvw 3 mb 0 tt1 8 r 0
v_accvgpr_read_b32 v38, acc8                       // glvw 3 mb 0 tt1 8 r 0
s_nop 1                                            // v_accvgpr read vgpr after write vgpr: 2 wait states
ds_bpermute_b32 v37, v32, v37, offset:8            // permute edge values
ds_bpermute_b32 v38, v32, v38, offset:12           // permute edge values
s_waitcnt 0                                        // wait for swizzle operation
v_accvgpr_write_b32 acc8, v37                      // 
v_accvgpr_write_b32 acc24, v38                     // 
v_accvgpr_read_b32 v37, acc25                      // glvw 3 mb 0 tt1 9 r 0
v_accvgpr_read_b32 v38, acc9                       // glvw 3 mb 0 tt1 9 r 0
s_nop 1                                            // v_accvgpr read vgpr after write vgpr: 2 wait states
ds_bpermute_b32 v37, v32, v37, offset:8            // permute edge values
ds_bpermute_b32 v38, v32, v38, offset:12           // permute edge values
s_waitcnt 0                                        // wait for swizzle operation
v_accvgpr_write_b32 acc9, v37                      // 
v_accvgpr_write_b32 acc25, v38                     // 
v_accvgpr_read_b32 v37, acc26                      // glvw 3 mb 0 tt1 10 r 0
v_accvgpr_read_b32 v38, acc10                      // glvw 3 mb 0 tt1 10 r 0
s_nop 1                                            // v_accvgpr read vgpr after write vgpr: 2 wait states
ds_bpermute_b32 v37, v32, v37, offset:8            // permute edge values
ds_bpermute_b32 v38, v32, v38, offset:12           // permute edge values
s_waitcnt 0                                        // wait for swizzle operation
v_accvgpr_write_b32 acc10, v37                     // 
v_accvgpr_write_b32 acc26, v38                     // 
v_accvgpr_read_b32 v37, acc27                      // glvw 3 mb 0 tt1 11 r 0
v_accvgpr_read_b32 v38, acc11                      // glvw 3 mb 0 tt1 11 r 0
s_nop 1                                            // v_accvgpr read vgpr after write vgpr: 2 wait states
ds_bpermute_b32 v37, v32, v37, offset:8            // permute edge values
ds_bpermute_b32 v38, v32, v38, offset:12           // permute edge values
s_waitcnt 0                                        // wait for swizzle operation
v_accvgpr_write_b32 acc11, v37                     // 
v_accvgpr_write_b32 acc27, v38                     // 
v_accvgpr_read_b32 v37, acc28                      // glvw 3 mb 0 tt1 12 r 0
v_accvgpr_read_b32 v38, acc12                      // glvw 3 mb 0 tt1 12 r 0
s_nop 1                                            // v_accvgpr read vgpr after write vgpr: 2 wait states
ds_bpermute_b32 v37, v32, v37, offset:8            // permute edge values
ds_bpermute_b32 v38, v32, v38, offset:12           // permute edge values
s_waitcnt 0                                        // wait for swizzle operation
v_accvgpr_write_b32 acc12, v37                     // 
v_accvgpr_write_b32 acc28, v38                     // 
v_accvgpr_read_b32 v37, acc29                      // glvw 3 mb 0 tt1 13 r 0
v_accvgpr_read_b32 v38, acc13                      // glvw 3 mb 0 tt1 13 r 0
s_nop 1                                            // v_accvgpr read vgpr after write vgpr: 2 wait states
ds_bpermute_b32 v37, v32, v37, offset:8            // permute edge values
ds_bpermute_b32 v38, v32, v38, offset:12           // permute edge values
s_waitcnt 0                                        // wait for swizzle operation
v_accvgpr_write_b32 acc13, v37                     // 
v_accvgpr_write_b32 acc29, v38                     // 
v_accvgpr_read_b32 v37, acc30                      // glvw 3 mb 0 tt1 14 r 0
v_accvgpr_read_b32 v38, acc14                      // glvw 3 mb 0 tt1 14 r 0
s_nop 1                                            // v_accvgpr read vgpr after write vgpr: 2 wait states
ds_bpermute_b32 v37, v32, v37, offset:8            // permute edge values
ds_bpermute_b32 v38, v32, v38, offset:12           // permute edge values
s_waitcnt 0                                        // wait for swizzle operation
v_accvgpr_write_b32 acc14, v37                     // 
v_accvgpr_write_b32 acc30, v38                     // 
v_accvgpr_read_b32 v37, acc31                      // glvw 3 mb 0 tt1 15 r 0
v_accvgpr_read_b32 v38, acc15                      // glvw 3 mb 0 tt1 15 r 0
s_nop 1                                            // v_accvgpr read vgpr after write vgpr: 2 wait states
ds_bpermute_b32 v37, v32, v37, offset:8            // permute edge values
ds_bpermute_b32 v38, v32, v38, offset:12           // permute edge values
s_waitcnt 0                                        // wait for swizzle operation
v_accvgpr_write_b32 acc15, v37                     // 
v_accvgpr_write_b32 acc31, v38                     // 
s_mov_b64 s[34:35], 0xFFFFFFFFFFFFFFFF             // to restore all threads active
s_or_saveexec_b64 vcc, s[34:35]                    // all threads active
s_branch label_0041                                // done shifting


/******************************************/
/* shift d0 r=4 mb=0 vw0                  */
/******************************************/
label_0031: // r4 mb0 vw0 
s_mov_b32 s34, 0                                   // 
_v_cmpx_eq_u32 s[34:35], v36, s34                  // is thread in edge glvw region
v_and_b32 v32, 63, v[vgprSerial]                   // permute register between threads
v_lshlrev_b32 v32, 2, v32                          // permute register between threads
v_accvgpr_read_b32 v37, acc0                       // glvw 4 mb 0 tt1 0 r 0
v_accvgpr_read_b32 v38, acc16                      // glvw 4 mb 0 tt1 0 r 0
s_nop 1                                            // v_accvgpr read vgpr after write vgpr: 2 wait states
ds_bpermute_b32 v37, v32, v37, offset:8            // permute edge values
ds_bpermute_b32 v38, v32, v38, offset:8            // permute edge values
s_waitcnt 0                                        // wait for swizzle operation
v_accvgpr_write_b32 acc0, v37                      // 
v_accvgpr_write_b32 acc16, v38                     // 
v_accvgpr_read_b32 v37, acc1                       // glvw 4 mb 0 tt1 1 r 0
v_accvgpr_read_b32 v38, acc17                      // glvw 4 mb 0 tt1 1 r 0
s_nop 1                                            // v_accvgpr read vgpr after write vgpr: 2 wait states
ds_bpermute_b32 v37, v32, v37, offset:8            // permute edge values
ds_bpermute_b32 v38, v32, v38, offset:8            // permute edge values
s_waitcnt 0                                        // wait for swizzle operation
v_accvgpr_write_b32 acc1, v37                      // 
v_accvgpr_write_b32 acc17, v38                     // 
v_accvgpr_read_b32 v37, acc2                       // glvw 4 mb 0 tt1 2 r 0
v_accvgpr_read_b32 v38, acc18                      // glvw 4 mb 0 tt1 2 r 0
s_nop 1                                            // v_accvgpr read vgpr after write vgpr: 2 wait states
ds_bpermute_b32 v37, v32, v37, offset:8            // permute edge values
ds_bpermute_b32 v38, v32, v38, offset:8            // permute edge values
s_waitcnt 0                                        // wait for swizzle operation
v_accvgpr_write_b32 acc2, v37                      // 
v_accvgpr_write_b32 acc18, v38                     // 
v_accvgpr_read_b32 v37, acc3                       // glvw 4 mb 0 tt1 3 r 0
v_accvgpr_read_b32 v38, acc19                      // glvw 4 mb 0 tt1 3 r 0
s_nop 1                                            // v_accvgpr read vgpr after write vgpr: 2 wait states
ds_bpermute_b32 v37, v32, v37, offset:8            // permute edge values
ds_bpermute_b32 v38, v32, v38, offset:8            // permute edge values
s_waitcnt 0                                        // wait for swizzle operation
v_accvgpr_write_b32 acc3, v37                      // 
v_accvgpr_write_b32 acc19, v38                     // 
v_accvgpr_read_b32 v37, acc4                       // glvw 4 mb 0 tt1 4 r 0
v_accvgpr_read_b32 v38, acc20                      // glvw 4 mb 0 tt1 4 r 0
s_nop 1                                            // v_accvgpr read vgpr after write vgpr: 2 wait states
ds_bpermute_b32 v37, v32, v37, offset:8            // permute edge values
ds_bpermute_b32 v38, v32, v38, offset:8            // permute edge values
s_waitcnt 0                                        // wait for swizzle operation
v_accvgpr_write_b32 acc4, v37                      // 
v_accvgpr_write_b32 acc20, v38                     // 
v_accvgpr_read_b32 v37, acc5                       // glvw 4 mb 0 tt1 5 r 0
v_accvgpr_read_b32 v38, acc21                      // glvw 4 mb 0 tt1 5 r 0
s_nop 1                                            // v_accvgpr read vgpr after write vgpr: 2 wait states
ds_bpermute_b32 v37, v32, v37, offset:8            // permute edge values
ds_bpermute_b32 v38, v32, v38, offset:8            // permute edge values
s_waitcnt 0                                        // wait for swizzle operation
v_accvgpr_write_b32 acc5, v37                      // 
v_accvgpr_write_b32 acc21, v38                     // 
v_accvgpr_read_b32 v37, acc6                       // glvw 4 mb 0 tt1 6 r 0
v_accvgpr_read_b32 v38, acc22                      // glvw 4 mb 0 tt1 6 r 0
s_nop 1                                            // v_accvgpr read vgpr after write vgpr: 2 wait states
ds_bpermute_b32 v37, v32, v37, offset:8            // permute edge values
ds_bpermute_b32 v38, v32, v38, offset:8            // permute edge values
s_waitcnt 0                                        // wait for swizzle operation
v_accvgpr_write_b32 acc6, v37                      // 
v_accvgpr_write_b32 acc22, v38                     // 
v_accvgpr_read_b32 v37, acc7                       // glvw 4 mb 0 tt1 7 r 0
v_accvgpr_read_b32 v38, acc23                      // glvw 4 mb 0 tt1 7 r 0
s_nop 1                                            // v_accvgpr read vgpr after write vgpr: 2 wait states
ds_bpermute_b32 v37, v32, v37, offset:8            // permute edge values
ds_bpermute_b32 v38, v32, v38, offset:8            // permute edge values
s_waitcnt 0                                        // wait for swizzle operation
v_accvgpr_write_b32 acc7, v37                      // 
v_accvgpr_write_b32 acc23, v38                     // 
v_accvgpr_read_b32 v37, acc8                       // glvw 4 mb 0 tt1 8 r 0
v_accvgpr_read_b32 v38, acc24                      // glvw 4 mb 0 tt1 8 r 0
s_nop 1                                            // v_accvgpr read vgpr after write vgpr: 2 wait states
ds_bpermute_b32 v37, v32, v37, offset:8            // permute edge values
ds_bpermute_b32 v38, v32, v38, offset:8            // permute edge values
s_waitcnt 0                                        // wait for swizzle operation
v_accvgpr_write_b32 acc8, v37                      // 
v_accvgpr_write_b32 acc24, v38                     // 
v_accvgpr_read_b32 v37, acc9                       // glvw 4 mb 0 tt1 9 r 0
v_accvgpr_read_b32 v38, acc25                      // glvw 4 mb 0 tt1 9 r 0
s_nop 1                                            // v_accvgpr read vgpr after write vgpr: 2 wait states
ds_bpermute_b32 v37, v32, v37, offset:8            // permute edge values
ds_bpermute_b32 v38, v32, v38, offset:8            // permute edge values
s_waitcnt 0                                        // wait for swizzle operation
v_accvgpr_write_b32 acc9, v37                      // 
v_accvgpr_write_b32 acc25, v38                     // 
v_accvgpr_read_b32 v37, acc10                      // glvw 4 mb 0 tt1 10 r 0
v_accvgpr_read_b32 v38, acc26                      // glvw 4 mb 0 tt1 10 r 0
s_nop 1                                            // v_accvgpr read vgpr after write vgpr: 2 wait states
ds_bpermute_b32 v37, v32, v37, offset:8            // permute edge values
ds_bpermute_b32 v38, v32, v38, offset:8            // permute edge values
s_waitcnt 0                                        // wait for swizzle operation
v_accvgpr_write_b32 acc10, v37                     // 
v_accvgpr_write_b32 acc26, v38                     // 
v_accvgpr_read_b32 v37, acc11                      // glvw 4 mb 0 tt1 11 r 0
v_accvgpr_read_b32 v38, acc27                      // glvw 4 mb 0 tt1 11 r 0
s_nop 1                                            // v_accvgpr read vgpr after write vgpr: 2 wait states
ds_bpermute_b32 v37, v32, v37, offset:8            // permute edge values
ds_bpermute_b32 v38, v32, v38, offset:8            // permute edge values
s_waitcnt 0                                        // wait for swizzle operation
v_accvgpr_write_b32 acc11, v37                     // 
v_accvgpr_write_b32 acc27, v38                     // 
v_accvgpr_read_b32 v37, acc12                      // glvw 4 mb 0 tt1 12 r 0
v_accvgpr_read_b32 v38, acc28                      // glvw 4 mb 0 tt1 12 r 0
s_nop 1                                            // v_accvgpr read vgpr after write vgpr: 2 wait states
ds_bpermute_b32 v37, v32, v37, offset:8            // permute edge values
ds_bpermute_b32 v38, v32, v38, offset:8            // permute edge values
s_waitcnt 0                                        // wait for swizzle operation
v_accvgpr_write_b32 acc12, v37                     // 
v_accvgpr_write_b32 acc28, v38                     // 
v_accvgpr_read_b32 v37, acc13                      // glvw 4 mb 0 tt1 13 r 0
v_accvgpr_read_b32 v38, acc29                      // glvw 4 mb 0 tt1 13 r 0
s_nop 1                                            // v_accvgpr read vgpr after write vgpr: 2 wait states
ds_bpermute_b32 v37, v32, v37, offset:8            // permute edge values
ds_bpermute_b32 v38, v32, v38, offset:8            // permute edge values
s_waitcnt 0                                        // wait for swizzle operation
v_accvgpr_write_b32 acc13, v37                     // 
v_accvgpr_write_b32 acc29, v38                     // 
v_accvgpr_read_b32 v37, acc14                      // glvw 4 mb 0 tt1 14 r 0
v_accvgpr_read_b32 v38, acc30                      // glvw 4 mb 0 tt1 14 r 0
s_nop 1                                            // v_accvgpr read vgpr after write vgpr: 2 wait states
ds_bpermute_b32 v37, v32, v37, offset:8            // permute edge values
ds_bpermute_b32 v38, v32, v38, offset:8            // permute edge values
s_waitcnt 0                                        // wait for swizzle operation
v_accvgpr_write_b32 acc14, v37                     // 
v_accvgpr_write_b32 acc30, v38                     // 
v_accvgpr_read_b32 v37, acc15                      // glvw 4 mb 0 tt1 15 r 0
v_accvgpr_read_b32 v38, acc31                      // glvw 4 mb 0 tt1 15 r 0
s_nop 1                                            // v_accvgpr read vgpr after write vgpr: 2 wait states
ds_bpermute_b32 v37, v32, v37, offset:8            // permute edge values
ds_bpermute_b32 v38, v32, v38, offset:8            // permute edge values
s_waitcnt 0                                        // wait for swizzle operation
v_accvgpr_write_b32 acc15, v37                     // 
v_accvgpr_write_b32 acc31, v38                     // 
s_mov_b64 s[34:35], 0xFFFFFFFFFFFFFFFF             // to restore all threads active
s_or_saveexec_b64 vcc, s[34:35]                    // all threads active
s_branch label_0041                                // done shifting


/******************************************/
/* shift d0 r=5 mb=0 vw0                  */
/******************************************/
label_0034: // r5 mb0 vw0 
s_mov_b32 s34, 0                                   // 
_v_cmpx_eq_u32 s[34:35], v36, s34                  // is thread in edge glvw region
v_and_b32 v32, 63, v[vgprSerial]                   // permute register between threads
v_lshlrev_b32 v32, 2, v32                          // permute register between threads
v_accvgpr_read_b32 v37, acc16                      // glvw 5 mb 0 tt1 0 r 0
v_accvgpr_read_b32 v38, acc0                       // glvw 5 mb 0 tt1 0 r 0
s_nop 1                                            // v_accvgpr read vgpr after write vgpr: 2 wait states
ds_bpermute_b32 v37, v32, v37, offset:4            // permute edge values
ds_bpermute_b32 v38, v32, v38, offset:8            // permute edge values
s_waitcnt 0                                        // wait for swizzle operation
v_accvgpr_write_b32 acc0, v37                      // 
v_accvgpr_write_b32 acc16, v38                     // 
v_accvgpr_read_b32 v37, acc17                      // glvw 5 mb 0 tt1 1 r 0
v_accvgpr_read_b32 v38, acc1                       // glvw 5 mb 0 tt1 1 r 0
s_nop 1                                            // v_accvgpr read vgpr after write vgpr: 2 wait states
ds_bpermute_b32 v37, v32, v37, offset:4            // permute edge values
ds_bpermute_b32 v38, v32, v38, offset:8            // permute edge values
s_waitcnt 0                                        // wait for swizzle operation
v_accvgpr_write_b32 acc1, v37                      // 
v_accvgpr_write_b32 acc17, v38                     // 
v_accvgpr_read_b32 v37, acc18                      // glvw 5 mb 0 tt1 2 r 0
v_accvgpr_read_b32 v38, acc2                       // glvw 5 mb 0 tt1 2 r 0
s_nop 1                                            // v_accvgpr read vgpr after write vgpr: 2 wait states
ds_bpermute_b32 v37, v32, v37, offset:4            // permute edge values
ds_bpermute_b32 v38, v32, v38, offset:8            // permute edge values
s_waitcnt 0                                        // wait for swizzle operation
v_accvgpr_write_b32 acc2, v37                      // 
v_accvgpr_write_b32 acc18, v38                     // 
v_accvgpr_read_b32 v37, acc19                      // glvw 5 mb 0 tt1 3 r 0
v_accvgpr_read_b32 v38, acc3                       // glvw 5 mb 0 tt1 3 r 0
s_nop 1                                            // v_accvgpr read vgpr after write vgpr: 2 wait states
ds_bpermute_b32 v37, v32, v37, offset:4            // permute edge values
ds_bpermute_b32 v38, v32, v38, offset:8            // permute edge values
s_waitcnt 0                                        // wait for swizzle operation
v_accvgpr_write_b32 acc3, v37                      // 
v_accvgpr_write_b32 acc19, v38                     // 
v_accvgpr_read_b32 v37, acc20                      // glvw 5 mb 0 tt1 4 r 0
v_accvgpr_read_b32 v38, acc4                       // glvw 5 mb 0 tt1 4 r 0
s_nop 1                                            // v_accvgpr read vgpr after write vgpr: 2 wait states
ds_bpermute_b32 v37, v32, v37, offset:4            // permute edge values
ds_bpermute_b32 v38, v32, v38, offset:8            // permute edge values
s_waitcnt 0                                        // wait for swizzle operation
v_accvgpr_write_b32 acc4, v37                      // 
v_accvgpr_write_b32 acc20, v38                     // 
v_accvgpr_read_b32 v37, acc21                      // glvw 5 mb 0 tt1 5 r 0
v_accvgpr_read_b32 v38, acc5                       // glvw 5 mb 0 tt1 5 r 0
s_nop 1                                            // v_accvgpr read vgpr after write vgpr: 2 wait states
ds_bpermute_b32 v37, v32, v37, offset:4            // permute edge values
ds_bpermute_b32 v38, v32, v38, offset:8            // permute edge values
s_waitcnt 0                                        // wait for swizzle operation
v_accvgpr_write_b32 acc5, v37                      // 
v_accvgpr_write_b32 acc21, v38                     // 
v_accvgpr_read_b32 v37, acc22                      // glvw 5 mb 0 tt1 6 r 0
v_accvgpr_read_b32 v38, acc6                       // glvw 5 mb 0 tt1 6 r 0
s_nop 1                                            // v_accvgpr read vgpr after write vgpr: 2 wait states
ds_bpermute_b32 v37, v32, v37, offset:4            // permute edge values
ds_bpermute_b32 v38, v32, v38, offset:8            // permute edge values
s_waitcnt 0                                        // wait for swizzle operation
v_accvgpr_write_b32 acc6, v37                      // 
v_accvgpr_write_b32 acc22, v38                     // 
v_accvgpr_read_b32 v37, acc23                      // glvw 5 mb 0 tt1 7 r 0
v_accvgpr_read_b32 v38, acc7                       // glvw 5 mb 0 tt1 7 r 0
s_nop 1                                            // v_accvgpr read vgpr after write vgpr: 2 wait states
ds_bpermute_b32 v37, v32, v37, offset:4            // permute edge values
ds_bpermute_b32 v38, v32, v38, offset:8            // permute edge values
s_waitcnt 0                                        // wait for swizzle operation
v_accvgpr_write_b32 acc7, v37                      // 
v_accvgpr_write_b32 acc23, v38                     // 
v_accvgpr_read_b32 v37, acc24                      // glvw 5 mb 0 tt1 8 r 0
v_accvgpr_read_b32 v38, acc8                       // glvw 5 mb 0 tt1 8 r 0
s_nop 1                                            // v_accvgpr read vgpr after write vgpr: 2 wait states
ds_bpermute_b32 v37, v32, v37, offset:4            // permute edge values
ds_bpermute_b32 v38, v32, v38, offset:8            // permute edge values
s_waitcnt 0                                        // wait for swizzle operation
v_accvgpr_write_b32 acc8, v37                      // 
v_accvgpr_write_b32 acc24, v38                     // 
v_accvgpr_read_b32 v37, acc25                      // glvw 5 mb 0 tt1 9 r 0
v_accvgpr_read_b32 v38, acc9                       // glvw 5 mb 0 tt1 9 r 0
s_nop 1                                            // v_accvgpr read vgpr after write vgpr: 2 wait states
ds_bpermute_b32 v37, v32, v37, offset:4            // permute edge values
ds_bpermute_b32 v38, v32, v38, offset:8            // permute edge values
s_waitcnt 0                                        // wait for swizzle operation
v_accvgpr_write_b32 acc9, v37                      // 
v_accvgpr_write_b32 acc25, v38                     // 
v_accvgpr_read_b32 v37, acc26                      // glvw 5 mb 0 tt1 10 r 0
v_accvgpr_read_b32 v38, acc10                      // glvw 5 mb 0 tt1 10 r 0
s_nop 1                                            // v_accvgpr read vgpr after write vgpr: 2 wait states
ds_bpermute_b32 v37, v32, v37, offset:4            // permute edge values
ds_bpermute_b32 v38, v32, v38, offset:8            // permute edge values
s_waitcnt 0                                        // wait for swizzle operation
v_accvgpr_write_b32 acc10, v37                     // 
v_accvgpr_write_b32 acc26, v38                     // 
v_accvgpr_read_b32 v37, acc27                      // glvw 5 mb 0 tt1 11 r 0
v_accvgpr_read_b32 v38, acc11                      // glvw 5 mb 0 tt1 11 r 0
s_nop 1                                            // v_accvgpr read vgpr after write vgpr: 2 wait states
ds_bpermute_b32 v37, v32, v37, offset:4            // permute edge values
ds_bpermute_b32 v38, v32, v38, offset:8            // permute edge values
s_waitcnt 0                                        // wait for swizzle operation
v_accvgpr_write_b32 acc11, v37                     // 
v_accvgpr_write_b32 acc27, v38                     // 
v_accvgpr_read_b32 v37, acc28                      // glvw 5 mb 0 tt1 12 r 0
v_accvgpr_read_b32 v38, acc12                      // glvw 5 mb 0 tt1 12 r 0
s_nop 1                                            // v_accvgpr read vgpr after write vgpr: 2 wait states
ds_bpermute_b32 v37, v32, v37, offset:4            // permute edge values
ds_bpermute_b32 v38, v32, v38, offset:8            // permute edge values
s_waitcnt 0                                        // wait for swizzle operation
v_accvgpr_write_b32 acc12, v37                     // 
v_accvgpr_write_b32 acc28, v38                     // 
v_accvgpr_read_b32 v37, acc29                      // glvw 5 mb 0 tt1 13 r 0
v_accvgpr_read_b32 v38, acc13                      // glvw 5 mb 0 tt1 13 r 0
s_nop 1                                            // v_accvgpr read vgpr after write vgpr: 2 wait states
ds_bpermute_b32 v37, v32, v37, offset:4            // permute edge values
ds_bpermute_b32 v38, v32, v38, offset:8            // permute edge values
s_waitcnt 0                                        // wait for swizzle operation
v_accvgpr_write_b32 acc13, v37                     // 
v_accvgpr_write_b32 acc29, v38                     // 
v_accvgpr_read_b32 v37, acc30                      // glvw 5 mb 0 tt1 14 r 0
v_accvgpr_read_b32 v38, acc14                      // glvw 5 mb 0 tt1 14 r 0
s_nop 1                                            // v_accvgpr read vgpr after write vgpr: 2 wait states
ds_bpermute_b32 v37, v32, v37, offset:4            // permute edge values
ds_bpermute_b32 v38, v32, v38, offset:8            // permute edge values
s_waitcnt 0                                        // wait for swizzle operation
v_accvgpr_write_b32 acc14, v37                     // 
v_accvgpr_write_b32 acc30, v38                     // 
v_accvgpr_read_b32 v37, acc31                      // glvw 5 mb 0 tt1 15 r 0
v_accvgpr_read_b32 v38, acc15                      // glvw 5 mb 0 tt1 15 r 0
s_nop 1                                            // v_accvgpr read vgpr after write vgpr: 2 wait states
ds_bpermute_b32 v37, v32, v37, offset:4            // permute edge values
ds_bpermute_b32 v38, v32, v38, offset:8            // permute edge values
s_waitcnt 0                                        // wait for swizzle operation
v_accvgpr_write_b32 acc15, v37                     // 
v_accvgpr_write_b32 acc31, v38                     // 
s_mov_b64 s[34:35], 0xFFFFFFFFFFFFFFFF             // to restore all threads active
s_or_saveexec_b64 vcc, s[34:35]                    // all threads active
s_branch label_0041                                // done shifting


/******************************************/
/* shift d0 r=6 mb=0 vw0                  */
/******************************************/
label_0037: // r6 mb0 vw0 
s_mov_b32 s34, 0                                   // 
_v_cmpx_eq_u32 s[34:35], v36, s34                  // is thread in edge glvw region
v_and_b32 v32, 63, v[vgprSerial]                   // permute register between threads
v_lshlrev_b32 v32, 2, v32                          // permute register between threads
v_accvgpr_read_b32 v37, acc0                       // glvw 6 mb 0 tt1 0 r 0
v_accvgpr_read_b32 v38, acc16                      // glvw 6 mb 0 tt1 0 r 0
s_nop 1                                            // v_accvgpr read vgpr after write vgpr: 2 wait states
ds_bpermute_b32 v37, v32, v37, offset:4            // permute edge values
ds_bpermute_b32 v38, v32, v38, offset:4            // permute edge values
s_waitcnt 0                                        // wait for swizzle operation
v_accvgpr_write_b32 acc0, v37                      // 
v_accvgpr_write_b32 acc16, v38                     // 
v_accvgpr_read_b32 v37, acc1                       // glvw 6 mb 0 tt1 1 r 0
v_accvgpr_read_b32 v38, acc17                      // glvw 6 mb 0 tt1 1 r 0
s_nop 1                                            // v_accvgpr read vgpr after write vgpr: 2 wait states
ds_bpermute_b32 v37, v32, v37, offset:4            // permute edge values
ds_bpermute_b32 v38, v32, v38, offset:4            // permute edge values
s_waitcnt 0                                        // wait for swizzle operation
v_accvgpr_write_b32 acc1, v37                      // 
v_accvgpr_write_b32 acc17, v38                     // 
v_accvgpr_read_b32 v37, acc2                       // glvw 6 mb 0 tt1 2 r 0
v_accvgpr_read_b32 v38, acc18                      // glvw 6 mb 0 tt1 2 r 0
s_nop 1                                            // v_accvgpr read vgpr after write vgpr: 2 wait states
ds_bpermute_b32 v37, v32, v37, offset:4            // permute edge values
ds_bpermute_b32 v38, v32, v38, offset:4            // permute edge values
s_waitcnt 0                                        // wait for swizzle operation
v_accvgpr_write_b32 acc2, v37                      // 
v_accvgpr_write_b32 acc18, v38                     // 
v_accvgpr_read_b32 v37, acc3                       // glvw 6 mb 0 tt1 3 r 0
v_accvgpr_read_b32 v38, acc19                      // glvw 6 mb 0 tt1 3 r 0
s_nop 1                                            // v_accvgpr read vgpr after write vgpr: 2 wait states
ds_bpermute_b32 v37, v32, v37, offset:4            // permute edge values
ds_bpermute_b32 v38, v32, v38, offset:4            // permute edge values
s_waitcnt 0                                        // wait for swizzle operation
v_accvgpr_write_b32 acc3, v37                      // 
v_accvgpr_write_b32 acc19, v38                     // 
v_accvgpr_read_b32 v37, acc4                       // glvw 6 mb 0 tt1 4 r 0
v_accvgpr_read_b32 v38, acc20                      // glvw 6 mb 0 tt1 4 r 0
s_nop 1                                            // v_accvgpr read vgpr after write vgpr: 2 wait states
ds_bpermute_b32 v37, v32, v37, offset:4            // permute edge values
ds_bpermute_b32 v38, v32, v38, offset:4            // permute edge values
s_waitcnt 0                                        // wait for swizzle operation
v_accvgpr_write_b32 acc4, v37                      // 
v_accvgpr_write_b32 acc20, v38                     // 
v_accvgpr_read_b32 v37, acc5                       // glvw 6 mb 0 tt1 5 r 0
v_accvgpr_read_b32 v38, acc21                      // glvw 6 mb 0 tt1 5 r 0
s_nop 1                                            // v_accvgpr read vgpr after write vgpr: 2 wait states
ds_bpermute_b32 v37, v32, v37, offset:4            // permute edge values
ds_bpermute_b32 v38, v32, v38, offset:4            // permute edge values
s_waitcnt 0                                        // wait for swizzle operation
v_accvgpr_write_b32 acc5, v37                      // 
v_accvgpr_write_b32 acc21, v38                     // 
v_accvgpr_read_b32 v37, acc6                       // glvw 6 mb 0 tt1 6 r 0
v_accvgpr_read_b32 v38, acc22                      // glvw 6 mb 0 tt1 6 r 0
s_nop 1                                            // v_accvgpr read vgpr after write vgpr: 2 wait states
ds_bpermute_b32 v37, v32, v37, offset:4            // permute edge values
ds_bpermute_b32 v38, v32, v38, offset:4            // permute edge values
s_waitcnt 0                                        // wait for swizzle operation
v_accvgpr_write_b32 acc6, v37                      // 
v_accvgpr_write_b32 acc22, v38                     // 
v_accvgpr_read_b32 v37, acc7                       // glvw 6 mb 0 tt1 7 r 0
v_accvgpr_read_b32 v38, acc23                      // glvw 6 mb 0 tt1 7 r 0
s_nop 1                                            // v_accvgpr read vgpr after write vgpr: 2 wait states
ds_bpermute_b32 v37, v32, v37, offset:4            // permute edge values
ds_bpermute_b32 v38, v32, v38, offset:4            // permute edge values
s_waitcnt 0                                        // wait for swizzle operation
v_accvgpr_write_b32 acc7, v37                      // 
v_accvgpr_write_b32 acc23, v38                     // 
v_accvgpr_read_b32 v37, acc8                       // glvw 6 mb 0 tt1 8 r 0
v_accvgpr_read_b32 v38, acc24                      // glvw 6 mb 0 tt1 8 r 0
s_nop 1                                            // v_accvgpr read vgpr after write vgpr: 2 wait states
ds_bpermute_b32 v37, v32, v37, offset:4            // permute edge values
ds_bpermute_b32 v38, v32, v38, offset:4            // permute edge values
s_waitcnt 0                                        // wait for swizzle operation
v_accvgpr_write_b32 acc8, v37                      // 
v_accvgpr_write_b32 acc24, v38                     // 
v_accvgpr_read_b32 v37, acc9                       // glvw 6 mb 0 tt1 9 r 0
v_accvgpr_read_b32 v38, acc25                      // glvw 6 mb 0 tt1 9 r 0
s_nop 1                                            // v_accvgpr read vgpr after write vgpr: 2 wait states
ds_bpermute_b32 v37, v32, v37, offset:4            // permute edge values
ds_bpermute_b32 v38, v32, v38, offset:4            // permute edge values
s_waitcnt 0                                        // wait for swizzle operation
v_accvgpr_write_b32 acc9, v37                      // 
v_accvgpr_write_b32 acc25, v38                     // 
v_accvgpr_read_b32 v37, acc10                      // glvw 6 mb 0 tt1 10 r 0
v_accvgpr_read_b32 v38, acc26                      // glvw 6 mb 0 tt1 10 r 0
s_nop 1                                            // v_accvgpr read vgpr after write vgpr: 2 wait states
ds_bpermute_b32 v37, v32, v37, offset:4            // permute edge values
ds_bpermute_b32 v38, v32, v38, offset:4            // permute edge values
s_waitcnt 0                                        // wait for swizzle operation
v_accvgpr_write_b32 acc10, v37                     // 
v_accvgpr_write_b32 acc26, v38                     // 
v_accvgpr_read_b32 v37, acc11                      // glvw 6 mb 0 tt1 11 r 0
v_accvgpr_read_b32 v38, acc27                      // glvw 6 mb 0 tt1 11 r 0
s_nop 1                                            // v_accvgpr read vgpr after write vgpr: 2 wait states
ds_bpermute_b32 v37, v32, v37, offset:4            // permute edge values
ds_bpermute_b32 v38, v32, v38, offset:4            // permute edge values
s_waitcnt 0                                        // wait for swizzle operation
v_accvgpr_write_b32 acc11, v37                     // 
v_accvgpr_write_b32 acc27, v38                     // 
v_accvgpr_read_b32 v37, acc12                      // glvw 6 mb 0 tt1 12 r 0
v_accvgpr_read_b32 v38, acc28                      // glvw 6 mb 0 tt1 12 r 0
s_nop 1                                            // v_accvgpr read vgpr after write vgpr: 2 wait states
ds_bpermute_b32 v37, v32, v37, offset:4            // permute edge values
ds_bpermute_b32 v38, v32, v38, offset:4            // permute edge values
s_waitcnt 0                                        // wait for swizzle operation
v_accvgpr_write_b32 acc12, v37                     // 
v_accvgpr_write_b32 acc28, v38                     // 
v_accvgpr_read_b32 v37, acc13                      // glvw 6 mb 0 tt1 13 r 0
v_accvgpr_read_b32 v38, acc29                      // glvw 6 mb 0 tt1 13 r 0
s_nop 1                                            // v_accvgpr read vgpr after write vgpr: 2 wait states
ds_bpermute_b32 v37, v32, v37, offset:4            // permute edge values
ds_bpermute_b32 v38, v32, v38, offset:4            // permute edge values
s_waitcnt 0                                        // wait for swizzle operation
v_accvgpr_write_b32 acc13, v37                     // 
v_accvgpr_write_b32 acc29, v38                     // 
v_accvgpr_read_b32 v37, acc14                      // glvw 6 mb 0 tt1 14 r 0
v_accvgpr_read_b32 v38, acc30                      // glvw 6 mb 0 tt1 14 r 0
s_nop 1                                            // v_accvgpr read vgpr after write vgpr: 2 wait states
ds_bpermute_b32 v37, v32, v37, offset:4            // permute edge values
ds_bpermute_b32 v38, v32, v38, offset:4            // permute edge values
s_waitcnt 0                                        // wait for swizzle operation
v_accvgpr_write_b32 acc14, v37                     // 
v_accvgpr_write_b32 acc30, v38                     // 
v_accvgpr_read_b32 v37, acc15                      // glvw 6 mb 0 tt1 15 r 0
v_accvgpr_read_b32 v38, acc31                      // glvw 6 mb 0 tt1 15 r 0
s_nop 1                                            // v_accvgpr read vgpr after write vgpr: 2 wait states
ds_bpermute_b32 v37, v32, v37, offset:4            // permute edge values
ds_bpermute_b32 v38, v32, v38, offset:4            // permute edge values
s_waitcnt 0                                        // wait for swizzle operation
v_accvgpr_write_b32 acc15, v37                     // 
v_accvgpr_write_b32 acc31, v38                     // 
s_mov_b64 s[34:35], 0xFFFFFFFFFFFFFFFF             // to restore all threads active
s_or_saveexec_b64 vcc, s[34:35]                    // all threads active
s_branch label_0041                                // done shifting


/******************************************/
/* shift d0 r=7 mb=0 vw0                  */
/******************************************/
label_0040: // r7 mb0 vw0 
s_mov_b32 s34, 0                                   // 
_v_cmpx_eq_u32 s[34:35], v36, s34                  // is thread in edge glvw region
v_and_b32 v32, 63, v[vgprSerial]                   // permute register between threads
v_lshlrev_b32 v32, 2, v32                          // permute register between threads
v_accvgpr_read_b32 v37, acc16                      // glvw 7 mb 0 tt1 0 r 0
v_accvgpr_read_b32 v38, acc0                       // glvw 7 mb 0 tt1 0 r 0
s_nop 1                                            // v_accvgpr read vgpr after write vgpr: 2 wait states
ds_bpermute_b32 v38, v32, v38, offset:4            // permute edge values
s_waitcnt 0                                        // wait for swizzle operation
v_accvgpr_write_b32 acc0, v37                      // 
v_accvgpr_write_b32 acc16, v38                     // 
v_accvgpr_read_b32 v37, acc17                      // glvw 7 mb 0 tt1 1 r 0
v_accvgpr_read_b32 v38, acc1                       // glvw 7 mb 0 tt1 1 r 0
s_nop 1                                            // v_accvgpr read vgpr after write vgpr: 2 wait states
ds_bpermute_b32 v38, v32, v38, offset:4            // permute edge values
s_waitcnt 0                                        // wait for swizzle operation
v_accvgpr_write_b32 acc1, v37                      // 
v_accvgpr_write_b32 acc17, v38                     // 
v_accvgpr_read_b32 v37, acc18                      // glvw 7 mb 0 tt1 2 r 0
v_accvgpr_read_b32 v38, acc2                       // glvw 7 mb 0 tt1 2 r 0
s_nop 1                                            // v_accvgpr read vgpr after write vgpr: 2 wait states
ds_bpermute_b32 v38, v32, v38, offset:4            // permute edge values
s_waitcnt 0                                        // wait for swizzle operation
v_accvgpr_write_b32 acc2, v37                      // 
v_accvgpr_write_b32 acc18, v38                     // 
v_accvgpr_read_b32 v37, acc19                      // glvw 7 mb 0 tt1 3 r 0
v_accvgpr_read_b32 v38, acc3                       // glvw 7 mb 0 tt1 3 r 0
s_nop 1                                            // v_accvgpr read vgpr after write vgpr: 2 wait states
ds_bpermute_b32 v38, v32, v38, offset:4            // permute edge values
s_waitcnt 0                                        // wait for swizzle operation
v_accvgpr_write_b32 acc3, v37                      // 
v_accvgpr_write_b32 acc19, v38                     // 
v_accvgpr_read_b32 v37, acc20                      // glvw 7 mb 0 tt1 4 r 0
v_accvgpr_read_b32 v38, acc4                       // glvw 7 mb 0 tt1 4 r 0
s_nop 1                                            // v_accvgpr read vgpr after write vgpr: 2 wait states
ds_bpermute_b32 v38, v32, v38, offset:4            // permute edge values
s_waitcnt 0                                        // wait for swizzle operation
v_accvgpr_write_b32 acc4, v37                      // 
v_accvgpr_write_b32 acc20, v38                     // 
v_accvgpr_read_b32 v37, acc21                      // glvw 7 mb 0 tt1 5 r 0
v_accvgpr_read_b32 v38, acc5                       // glvw 7 mb 0 tt1 5 r 0
s_nop 1                                            // v_accvgpr read vgpr after write vgpr: 2 wait states
ds_bpermute_b32 v38, v32, v38, offset:4            // permute edge values
s_waitcnt 0                                        // wait for swizzle operation
v_accvgpr_write_b32 acc5, v37                      // 
v_accvgpr_write_b32 acc21, v38                     // 
v_accvgpr_read_b32 v37, acc22                      // glvw 7 mb 0 tt1 6 r 0
v_accvgpr_read_b32 v38, acc6                       // glvw 7 mb 0 tt1 6 r 0
s_nop 1                                            // v_accvgpr read vgpr after write vgpr: 2 wait states
ds_bpermute_b32 v38, v32, v38, offset:4            // permute edge values
s_waitcnt 0                                        // wait for swizzle operation
v_accvgpr_write_b32 acc6, v37                      // 
v_accvgpr_write_b32 acc22, v38                     // 
v_accvgpr_read_b32 v37, acc23                      // glvw 7 mb 0 tt1 7 r 0
v_accvgpr_read_b32 v38, acc7                       // glvw 7 mb 0 tt1 7 r 0
s_nop 1                                            // v_accvgpr read vgpr after write vgpr: 2 wait states
ds_bpermute_b32 v38, v32, v38, offset:4            // permute edge values
s_waitcnt 0                                        // wait for swizzle operation
v_accvgpr_write_b32 acc7, v37                      // 
v_accvgpr_write_b32 acc23, v38                     // 
v_accvgpr_read_b32 v37, acc24                      // glvw 7 mb 0 tt1 8 r 0
v_accvgpr_read_b32 v38, acc8                       // glvw 7 mb 0 tt1 8 r 0
s_nop 1                                            // v_accvgpr read vgpr after write vgpr: 2 wait states
ds_bpermute_b32 v38, v32, v38, offset:4            // permute edge values
s_waitcnt 0                                        // wait for swizzle operation
v_accvgpr_write_b32 acc8, v37                      // 
v_accvgpr_write_b32 acc24, v38                     // 
v_accvgpr_read_b32 v37, acc25                      // glvw 7 mb 0 tt1 9 r 0
v_accvgpr_read_b32 v38, acc9                       // glvw 7 mb 0 tt1 9 r 0
s_nop 1                                            // v_accvgpr read vgpr after write vgpr: 2 wait states
ds_bpermute_b32 v38, v32, v38, offset:4            // permute edge values
s_waitcnt 0                                        // wait for swizzle operation
v_accvgpr_write_b32 acc9, v37                      // 
v_accvgpr_write_b32 acc25, v38                     // 
v_accvgpr_read_b32 v37, acc26                      // glvw 7 mb 0 tt1 10 r 0
v_accvgpr_read_b32 v38, acc10                      // glvw 7 mb 0 tt1 10 r 0
s_nop 1                                            // v_accvgpr read vgpr after write vgpr: 2 wait states
ds_bpermute_b32 v38, v32, v38, offset:4            // permute edge values
s_waitcnt 0                                        // wait for swizzle operation
v_accvgpr_write_b32 acc10, v37                     // 
v_accvgpr_write_b32 acc26, v38                     // 
v_accvgpr_read_b32 v37, acc27                      // glvw 7 mb 0 tt1 11 r 0
v_accvgpr_read_b32 v38, acc11                      // glvw 7 mb 0 tt1 11 r 0
s_nop 1                                            // v_accvgpr read vgpr after write vgpr: 2 wait states
ds_bpermute_b32 v38, v32, v38, offset:4            // permute edge values
s_waitcnt 0                                        // wait for swizzle operation
v_accvgpr_write_b32 acc11, v37                     // 
v_accvgpr_write_b32 acc27, v38                     // 
v_accvgpr_read_b32 v37, acc28                      // glvw 7 mb 0 tt1 12 r 0
v_accvgpr_read_b32 v38, acc12                      // glvw 7 mb 0 tt1 12 r 0
s_nop 1                                            // v_accvgpr read vgpr after write vgpr: 2 wait states
ds_bpermute_b32 v38, v32, v38, offset:4            // permute edge values
s_waitcnt 0                                        // wait for swizzle operation
v_accvgpr_write_b32 acc12, v37                     // 
v_accvgpr_write_b32 acc28, v38                     // 
v_accvgpr_read_b32 v37, acc29                      // glvw 7 mb 0 tt1 13 r 0
v_accvgpr_read_b32 v38, acc13                      // glvw 7 mb 0 tt1 13 r 0
s_nop 1                                            // v_accvgpr read vgpr after write vgpr: 2 wait states
ds_bpermute_b32 v38, v32, v38, offset:4            // permute edge values
s_waitcnt 0                                        // wait for swizzle operation
v_accvgpr_write_b32 acc13, v37                     // 
v_accvgpr_write_b32 acc29, v38                     // 
v_accvgpr_read_b32 v37, acc30                      // glvw 7 mb 0 tt1 14 r 0
v_accvgpr_read_b32 v38, acc14                      // glvw 7 mb 0 tt1 14 r 0
s_nop 1                                            // v_accvgpr read vgpr after write vgpr: 2 wait states
ds_bpermute_b32 v38, v32, v38, offset:4            // permute edge values
s_waitcnt 0                                        // wait for swizzle operation
v_accvgpr_write_b32 acc14, v37                     // 
v_accvgpr_write_b32 acc30, v38                     // 
v_accvgpr_read_b32 v37, acc31                      // glvw 7 mb 0 tt1 15 r 0
v_accvgpr_read_b32 v38, acc15                      // glvw 7 mb 0 tt1 15 r 0
s_nop 1                                            // v_accvgpr read vgpr after write vgpr: 2 wait states
ds_bpermute_b32 v38, v32, v38, offset:4            // permute edge values
s_waitcnt 0                                        // wait for swizzle operation
v_accvgpr_write_b32 acc15, v37                     // 
v_accvgpr_write_b32 acc31, v38                     // 
s_mov_b64 s[34:35], 0xFFFFFFFFFFFFFFFF             // to restore all threads active
s_or_saveexec_b64 vcc, s[34:35]                    // all threads active
s_branch label_0041                                // done shifting

label_0041: // end shift0


/* shift vector components d1 */

v_mov_b32 v33, s[sgprWorkGroup1]                   // 
v_mul_i32_i24 v33, -0x40, v33                      // wg*MT
_v_add_co_u32 v33, vcc, s[sgprSizesFree+1], v33    // wgMT = Size - wg*MT
v_mov_b32 v34, 0x40                                // MT
v_min_u32 v33, v34, v33                            // wgMT = (wgMT < MT) ? wgMT : MT
v_lshrrev_b32 v32, 6, v[vgprSerial]                // v32 = v[vgprSerial] / 64
v_and_b32 v35, 1, v32                              // v35 = v32 % 2
v_lshrrev_b32 v32, 5, v33                          // v32 = v33 / 32
v_and_b32 v36, 1, v32                              // v36 = v32 % 2
v_cmp_eq_u32 s[34:35], v36, v35                    // wave_id == block_belong_to_wave?
v_cndmask_b32 v33, v34, v33, s[34:35]              // wgMT = (wgMT < MT) ? wgMT : MT

/* mbReg: which mb block need to shift, mb(matrixInstCoal(32) * VectorWidth(1)) */
v_lshrrev_b32 v34, 3, v33                          // v34 = v33 / 8
v_lshlrev_b32 v36, 0x2, v35                        // v36 = v35 * 4
_v_sub_u32 v34, v34, v36                           // 

/* gbReg: glvw block id */
v_lshrrev_b32 v36, 3, v33                          // v36 = v33 / 8

/* tgbReg: glvw block id */
v_lshrrev_b32 v32, 5, v[vgprSerial]                // v32 = v[vgprSerial] / 32
v_and_b32 v37, 1, v32                              // v37 = v32 % 2
v_lshlrev_b32 v37, 0x2, v37                        // v37 = v37 * 4
v_lshrrev_b32 v37, 3, v37                          // v37 = v37 / 8
v_lshlrev_b32 v35, 0x2, v35                        // v35 = v35 * 4
_v_add_co_u32 v37, vcc, v35, v37                   // tgbReg = (tid_coal * continOut) / GLVW
_v_sub_u32 v36, v36, v37                           // 

/* vwReg: glvw in which vw block? */
v_and_b32 v35, 3, v33                              // permute register between threads
v_lshrrev_b32 v35, 3, v35                          // permute register between threads

/* rReg : reminder of M_size % GlobalLoadVectorWidth */
v_and_b32 v37, 7, v33                              // v37 = v33 % 8
v_cmp_eq_u32 vcc, v37, 0x1                         // wgMT%VW == 1
s_cbranch_vccnz label_0044                         // branch to shift d1 r=1
v_cmp_eq_u32 vcc, v37, 0x2                         // wgMT%VW == 2
s_cbranch_vccnz label_0053                         // branch to shift d1 r=2
v_cmp_eq_u32 vcc, v37, 0x3                         // wgMT%VW == 3
s_cbranch_vccnz label_0062                         // branch to shift d1 r=3
v_cmp_eq_u32 vcc, v37, 0x4                         // wgMT%VW == 4
s_cbranch_vccnz label_0071                         // branch to shift d1 r=4
v_cmp_eq_u32 vcc, v37, 0x5                         // wgMT%VW == 5
s_cbranch_vccnz label_0080                         // branch to shift d1 r=5
v_cmp_eq_u32 vcc, v37, 0x6                         // wgMT%VW == 6
s_cbranch_vccnz label_0089                         // branch to shift d1 r=6
v_cmp_eq_u32 vcc, v37, 0x7                         // wgMT%VW == 7
s_cbranch_vccnz label_0098                         // branch to shift d1 r=7
s_branch label_0107                                // no shifting

/******************************************/
/* shift d1 r=1                           */
/******************************************/
label_0044:
v_cmp_eq_u32 vcc, v34, 0x0                         // 
s_cbranch_vccnz label_0045                         // branch to shift d1 r1 mb0
v_cmp_eq_u32 vcc, v34, 0x1                         // 
s_cbranch_vccnz label_0047                         // branch to shift d1 r1 mb1
v_cmp_eq_u32 vcc, v34, 0x2                         // 
s_cbranch_vccnz label_0049                         // branch to shift d1 r1 mb2
v_cmp_eq_u32 vcc, v34, 0x3                         // 
s_cbranch_vccnz label_0051                         // branch to shift d1 r1 mb3

/******************************************/
/* shift d1 r=2                           */
/******************************************/
label_0053:
v_cmp_eq_u32 vcc, v34, 0x0                         // 
s_cbranch_vccnz label_0054                         // branch to shift d1 r2 mb0
v_cmp_eq_u32 vcc, v34, 0x1                         // 
s_cbranch_vccnz label_0056                         // branch to shift d1 r2 mb1
v_cmp_eq_u32 vcc, v34, 0x2                         // 
s_cbranch_vccnz label_0058                         // branch to shift d1 r2 mb2
v_cmp_eq_u32 vcc, v34, 0x3                         // 
s_cbranch_vccnz label_0060                         // branch to shift d1 r2 mb3

/******************************************/
/* shift d1 r=3                           */
/******************************************/
label_0062:
v_cmp_eq_u32 vcc, v34, 0x0                         // 
s_cbranch_vccnz label_0063                         // branch to shift d1 r3 mb0
v_cmp_eq_u32 vcc, v34, 0x1                         // 
s_cbranch_vccnz label_0065                         // branch to shift d1 r3 mb1
v_cmp_eq_u32 vcc, v34, 0x2                         // 
s_cbranch_vccnz label_0067                         // branch to shift d1 r3 mb2
v_cmp_eq_u32 vcc, v34, 0x3                         // 
s_cbranch_vccnz label_0069                         // branch to shift d1 r3 mb3

/******************************************/
/* shift d1 r=4                           */
/******************************************/
label_0071:
v_cmp_eq_u32 vcc, v34, 0x0                         // 
s_cbranch_vccnz label_0072                         // branch to shift d1 r4 mb0
v_cmp_eq_u32 vcc, v34, 0x1                         // 
s_cbranch_vccnz label_0074                         // branch to shift d1 r4 mb1
v_cmp_eq_u32 vcc, v34, 0x2                         // 
s_cbranch_vccnz label_0076                         // branch to shift d1 r4 mb2
v_cmp_eq_u32 vcc, v34, 0x3                         // 
s_cbranch_vccnz label_0078                         // branch to shift d1 r4 mb3

/******************************************/
/* shift d1 r=5                           */
/******************************************/
label_0080:
v_cmp_eq_u32 vcc, v34, 0x0                         // 
s_cbranch_vccnz label_0081                         // branch to shift d1 r5 mb0
v_cmp_eq_u32 vcc, v34, 0x1                         // 
s_cbranch_vccnz label_0083                         // branch to shift d1 r5 mb1
v_cmp_eq_u32 vcc, v34, 0x2                         // 
s_cbranch_vccnz label_0085                         // branch to shift d1 r5 mb2
v_cmp_eq_u32 vcc, v34, 0x3                         // 
s_cbranch_vccnz label_0087                         // branch to shift d1 r5 mb3

/******************************************/
/* shift d1 r=6                           */
/******************************************/
label_0089:
v_cmp_eq_u32 vcc, v34, 0x0                         // 
s_cbranch_vccnz label_0090                         // branch to shift d1 r6 mb0
v_cmp_eq_u32 vcc, v34, 0x1                         // 
s_cbranch_vccnz label_0092                         // branch to shift d1 r6 mb1
v_cmp_eq_u32 vcc, v34, 0x2                         // 
s_cbranch_vccnz label_0094                         // branch to shift d1 r6 mb2
v_cmp_eq_u32 vcc, v34, 0x3                         // 
s_cbranch_vccnz label_0096                         // branch to shift d1 r6 mb3

/******************************************/
/* shift d1 r=7                           */
/******************************************/
label_0098:
v_cmp_eq_u32 vcc, v34, 0x0                         // 
s_cbranch_vccnz label_0099                         // branch to shift d1 r7 mb0
v_cmp_eq_u32 vcc, v34, 0x1                         // 
s_cbranch_vccnz label_0101                         // branch to shift d1 r7 mb1
v_cmp_eq_u32 vcc, v34, 0x2                         // 
s_cbranch_vccnz label_0103                         // branch to shift d1 r7 mb2
v_cmp_eq_u32 vcc, v34, 0x3                         // 
s_cbranch_vccnz label_0105                         // branch to shift d1 r7 mb3

/******************************************/
/* shift d1 r=1 mb=0                      */
/******************************************/
label_0045: // r1 mb0 
v_cmp_eq_u32 vcc, v35, 0x0                         // 
s_cbranch_vccnz label_0046                         // branch to shift d1 r1 mb0 vw0

/******************************************/
/* shift d1 r=1 mb=1                      */
/******************************************/
label_0047: // r1 mb1 
v_cmp_eq_u32 vcc, v35, 0x0                         // 
s_cbranch_vccnz label_0048                         // branch to shift d1 r1 mb1 vw0

/******************************************/
/* shift d1 r=1 mb=2                      */
/******************************************/
label_0049: // r1 mb2 
v_cmp_eq_u32 vcc, v35, 0x0                         // 
s_cbranch_vccnz label_0050                         // branch to shift d1 r1 mb2 vw0

/******************************************/
/* shift d1 r=1 mb=3                      */
/******************************************/
label_0051: // r1 mb3 
v_cmp_eq_u32 vcc, v35, 0x0                         // 
s_cbranch_vccnz label_0052                         // branch to shift d1 r1 mb3 vw0

/******************************************/
/* shift d1 r=2 mb=0                      */
/******************************************/
label_0054: // r2 mb0 
v_cmp_eq_u32 vcc, v35, 0x0                         // 
s_cbranch_vccnz label_0055                         // branch to shift d1 r2 mb0 vw0

/******************************************/
/* shift d1 r=2 mb=1                      */
/******************************************/
label_0056: // r2 mb1 
v_cmp_eq_u32 vcc, v35, 0x0                         // 
s_cbranch_vccnz label_0057                         // branch to shift d1 r2 mb1 vw0

/******************************************/
/* shift d1 r=2 mb=2                      */
/******************************************/
label_0058: // r2 mb2 
v_cmp_eq_u32 vcc, v35, 0x0                         // 
s_cbranch_vccnz label_0059                         // branch to shift d1 r2 mb2 vw0

/******************************************/
/* shift d1 r=2 mb=3                      */
/******************************************/
label_0060: // r2 mb3 
v_cmp_eq_u32 vcc, v35, 0x0                         // 
s_cbranch_vccnz label_0061                         // branch to shift d1 r2 mb3 vw0

/******************************************/
/* shift d1 r=3 mb=0                      */
/******************************************/
label_0063: // r3 mb0 
v_cmp_eq_u32 vcc, v35, 0x0                         // 
s_cbranch_vccnz label_0064                         // branch to shift d1 r3 mb0 vw0

/******************************************/
/* shift d1 r=3 mb=1                      */
/******************************************/
label_0065: // r3 mb1 
v_cmp_eq_u32 vcc, v35, 0x0                         // 
s_cbranch_vccnz label_0066                         // branch to shift d1 r3 mb1 vw0

/******************************************/
/* shift d1 r=3 mb=2                      */
/******************************************/
label_0067: // r3 mb2 
v_cmp_eq_u32 vcc, v35, 0x0                         // 
s_cbranch_vccnz label_0068                         // branch to shift d1 r3 mb2 vw0

/******************************************/
/* shift d1 r=3 mb=3                      */
/******************************************/
label_0069: // r3 mb3 
v_cmp_eq_u32 vcc, v35, 0x0                         // 
s_cbranch_vccnz label_0070                         // branch to shift d1 r3 mb3 vw0

/******************************************/
/* shift d1 r=4 mb=0                      */
/******************************************/
label_0072: // r4 mb0 
v_cmp_eq_u32 vcc, v35, 0x0                         // 
s_cbranch_vccnz label_0073                         // branch to shift d1 r4 mb0 vw0

/******************************************/
/* shift d1 r=4 mb=1                      */
/******************************************/
label_0074: // r4 mb1 
v_cmp_eq_u32 vcc, v35, 0x0                         // 
s_cbranch_vccnz label_0075                         // branch to shift d1 r4 mb1 vw0

/******************************************/
/* shift d1 r=4 mb=2                      */
/******************************************/
label_0076: // r4 mb2 
v_cmp_eq_u32 vcc, v35, 0x0                         // 
s_cbranch_vccnz label_0077                         // branch to shift d1 r4 mb2 vw0

/******************************************/
/* shift d1 r=4 mb=3                      */
/******************************************/
label_0078: // r4 mb3 
v_cmp_eq_u32 vcc, v35, 0x0                         // 
s_cbranch_vccnz label_0079                         // branch to shift d1 r4 mb3 vw0

/******************************************/
/* shift d1 r=5 mb=0                      */
/******************************************/
label_0081: // r5 mb0 
v_cmp_eq_u32 vcc, v35, 0x0                         // 
s_cbranch_vccnz label_0082                         // branch to shift d1 r5 mb0 vw0

/******************************************/
/* shift d1 r=5 mb=1                      */
/******************************************/
label_0083: // r5 mb1 
v_cmp_eq_u32 vcc, v35, 0x0                         // 
s_cbranch_vccnz label_0084                         // branch to shift d1 r5 mb1 vw0

/******************************************/
/* shift d1 r=5 mb=2                      */
/******************************************/
label_0085: // r5 mb2 
v_cmp_eq_u32 vcc, v35, 0x0                         // 
s_cbranch_vccnz label_0086                         // branch to shift d1 r5 mb2 vw0

/******************************************/
/* shift d1 r=5 mb=3                      */
/******************************************/
label_0087: // r5 mb3 
v_cmp_eq_u32 vcc, v35, 0x0                         // 
s_cbranch_vccnz label_0088                         // branch to shift d1 r5 mb3 vw0

/******************************************/
/* shift d1 r=6 mb=0                      */
/******************************************/
label_0090: // r6 mb0 
v_cmp_eq_u32 vcc, v35, 0x0                         // 
s_cbranch_vccnz label_0091                         // branch to shift d1 r6 mb0 vw0

/******************************************/
/* shift d1 r=6 mb=1                      */
/******************************************/
label_0092: // r6 mb1 
v_cmp_eq_u32 vcc, v35, 0x0                         // 
s_cbranch_vccnz label_0093                         // branch to shift d1 r6 mb1 vw0

/******************************************/
/* shift d1 r=6 mb=2                      */
/******************************************/
label_0094: // r6 mb2 
v_cmp_eq_u32 vcc, v35, 0x0                         // 
s_cbranch_vccnz label_0095                         // branch to shift d1 r6 mb2 vw0

/******************************************/
/* shift d1 r=6 mb=3                      */
/******************************************/
label_0096: // r6 mb3 
v_cmp_eq_u32 vcc, v35, 0x0                         // 
s_cbranch_vccnz label_0097                         // branch to shift d1 r6 mb3 vw0

/******************************************/
/* shift d1 r=7 mb=0                      */
/******************************************/
label_0099: // r7 mb0 
v_cmp_eq_u32 vcc, v35, 0x0                         // 
s_cbranch_vccnz label_0100                         // branch to shift d1 r7 mb0 vw0

/******************************************/
/* shift d1 r=7 mb=1                      */
/******************************************/
label_0101: // r7 mb1 
v_cmp_eq_u32 vcc, v35, 0x0                         // 
s_cbranch_vccnz label_0102                         // branch to shift d1 r7 mb1 vw0

/******************************************/
/* shift d1 r=7 mb=2                      */
/******************************************/
label_0103: // r7 mb2 
v_cmp_eq_u32 vcc, v35, 0x0                         // 
s_cbranch_vccnz label_0104                         // branch to shift d1 r7 mb2 vw0

/******************************************/
/* shift d1 r=7 mb=3                      */
/******************************************/
label_0105: // r7 mb3 
v_cmp_eq_u32 vcc, v35, 0x0                         // 
s_cbranch_vccnz label_0106                         // branch to shift d1 r7 mb3 vw0

/******************************************/
/* shift d1 r=1 mb=0 vw0                  */
/******************************************/
label_0046: // r1 mb0 vw0 
s_mov_b32 s34, 0                                   // 
_v_cmpx_eq_u32 s[34:35], v36, s34                  // is thread in edge glvw region
v_and_b32 v32, 63, v[vgprSerial]                   // permute register between threads
v_lshlrev_b32 v32, 2, v32                          // permute register between threads
v_accvgpr_read_b32 v37, acc3                       // glvw 1 mb 0 tt1 0 r 0
s_nop 1                                            // v_accvgpr read vgpr after write vgpr: 2 wait states
ds_bpermute_b32 v37, v32, v37, offset:128          // permute edge values
s_waitcnt 0                                        // wait for swizzle operation
v_accvgpr_write_b32 acc0, v37                      // 
v_accvgpr_read_b32 v37, acc19                      // glvw 1 mb 0 tt1 1 r 0
s_nop 1                                            // v_accvgpr read vgpr after write vgpr: 2 wait states
ds_bpermute_b32 v37, v32, v37, offset:128          // permute edge values
s_waitcnt 0                                        // wait for swizzle operation
v_accvgpr_write_b32 acc16, v37                     // 
s_mov_b64 s[34:35], 0xFFFFFFFFFFFFFFFF             // to restore all threads active
s_or_saveexec_b64 vcc, s[34:35]                    // all threads active
s_branch label_0107                                // done shifting


/******************************************/
/* shift d1 r=1 mb=1 vw0                  */
/******************************************/
label_0048: // r1 mb1 vw0 
s_mov_b32 s34, 1                                   // 
_v_cmpx_eq_u32 s[34:35], v36, s34                  // is thread in edge glvw region
v_and_b32 v32, 63, v[vgprSerial]                   // permute register between threads
v_lshlrev_b32 v32, 2, v32                          // permute register between threads
v_accvgpr_read_b32 v37, acc7                       // glvw 1 mb 1 tt1 0 r 0
s_nop 1                                            // v_accvgpr read vgpr after write vgpr: 2 wait states
ds_bpermute_b32 v37, v32, v37, offset:128          // permute edge values
s_waitcnt 0                                        // wait for swizzle operation
v_accvgpr_write_b32 acc4, v37                      // 
v_accvgpr_read_b32 v37, acc23                      // glvw 1 mb 1 tt1 1 r 0
s_nop 1                                            // v_accvgpr read vgpr after write vgpr: 2 wait states
ds_bpermute_b32 v37, v32, v37, offset:128          // permute edge values
s_waitcnt 0                                        // wait for swizzle operation
v_accvgpr_write_b32 acc20, v37                     // 
s_mov_b64 s[34:35], 0xFFFFFFFFFFFFFFFF             // to restore all threads active
s_or_saveexec_b64 vcc, s[34:35]                    // all threads active
s_branch label_0107                                // done shifting


/******************************************/
/* shift d1 r=1 mb=2 vw0                  */
/******************************************/
label_0050: // r1 mb2 vw0 
s_mov_b32 s34, 2                                   // 
_v_cmpx_eq_u32 s[34:35], v36, s34                  // is thread in edge glvw region
v_and_b32 v32, 63, v[vgprSerial]                   // permute register between threads
v_lshlrev_b32 v32, 2, v32                          // permute register between threads
v_accvgpr_read_b32 v37, acc11                      // glvw 1 mb 2 tt1 0 r 0
s_nop 1                                            // v_accvgpr read vgpr after write vgpr: 2 wait states
ds_bpermute_b32 v37, v32, v37, offset:128          // permute edge values
s_waitcnt 0                                        // wait for swizzle operation
v_accvgpr_write_b32 acc8, v37                      // 
v_accvgpr_read_b32 v37, acc27                      // glvw 1 mb 2 tt1 1 r 0
s_nop 1                                            // v_accvgpr read vgpr after write vgpr: 2 wait states
ds_bpermute_b32 v37, v32, v37, offset:128          // permute edge values
s_waitcnt 0                                        // wait for swizzle operation
v_accvgpr_write_b32 acc24, v37                     // 
s_mov_b64 s[34:35], 0xFFFFFFFFFFFFFFFF             // to restore all threads active
s_or_saveexec_b64 vcc, s[34:35]                    // all threads active
s_branch label_0107                                // done shifting


/******************************************/
/* shift d1 r=1 mb=3 vw0                  */
/******************************************/
label_0052: // r1 mb3 vw0 
s_mov_b32 s34, 3                                   // 
_v_cmpx_eq_u32 s[34:35], v36, s34                  // is thread in edge glvw region
v_and_b32 v32, 63, v[vgprSerial]                   // permute register between threads
v_lshlrev_b32 v32, 2, v32                          // permute register between threads
v_accvgpr_read_b32 v37, acc15                      // glvw 1 mb 3 tt1 0 r 0
s_nop 1                                            // v_accvgpr read vgpr after write vgpr: 2 wait states
ds_bpermute_b32 v37, v32, v37, offset:128          // permute edge values
s_waitcnt 0                                        // wait for swizzle operation
v_accvgpr_write_b32 acc12, v37                     // 
v_accvgpr_read_b32 v37, acc31                      // glvw 1 mb 3 tt1 1 r 0
s_nop 1                                            // v_accvgpr read vgpr after write vgpr: 2 wait states
ds_bpermute_b32 v37, v32, v37, offset:128          // permute edge values
s_waitcnt 0                                        // wait for swizzle operation
v_accvgpr_write_b32 acc28, v37                     // 
s_mov_b64 s[34:35], 0xFFFFFFFFFFFFFFFF             // to restore all threads active
s_or_saveexec_b64 vcc, s[34:35]                    // all threads active
s_branch label_0107                                // done shifting


/******************************************/
/* shift d1 r=2 mb=0 vw0                  */
/******************************************/
label_0055: // r2 mb0 vw0 
s_mov_b32 s34, 0                                   // 
_v_cmpx_eq_u32 s[34:35], v36, s34                  // is thread in edge glvw region
v_and_b32 v32, 63, v[vgprSerial]                   // permute register between threads
v_lshlrev_b32 v32, 2, v32                          // permute register between threads
v_accvgpr_read_b32 v37, acc2                       // glvw 2 mb 0 tt1 0 r 0
v_accvgpr_read_b32 v38, acc3                       // glvw 2 mb 0 tt1 0 r 0
s_nop 1                                            // v_accvgpr read vgpr after write vgpr: 2 wait states
ds_bpermute_b32 v37, v32, v37, offset:128          // permute edge values
ds_bpermute_b32 v38, v32, v38, offset:128          // permute edge values
s_waitcnt 0                                        // wait for swizzle operation
v_accvgpr_write_b32 acc0, v37                      // 
v_accvgpr_write_b32 acc1, v38                      // 
v_accvgpr_read_b32 v37, acc18                      // glvw 2 mb 0 tt1 1 r 0
v_accvgpr_read_b32 v38, acc19                      // glvw 2 mb 0 tt1 1 r 0
s_nop 1                                            // v_accvgpr read vgpr after write vgpr: 2 wait states
ds_bpermute_b32 v37, v32, v37, offset:128          // permute edge values
ds_bpermute_b32 v38, v32, v38, offset:128          // permute edge values
s_waitcnt 0                                        // wait for swizzle operation
v_accvgpr_write_b32 acc16, v37                     // 
v_accvgpr_write_b32 acc17, v38                     // 
s_mov_b64 s[34:35], 0xFFFFFFFFFFFFFFFF             // to restore all threads active
s_or_saveexec_b64 vcc, s[34:35]                    // all threads active
s_branch label_0107                                // done shifting


/******************************************/
/* shift d1 r=2 mb=1 vw0                  */
/******************************************/
label_0057: // r2 mb1 vw0 
s_mov_b32 s34, 1                                   // 
_v_cmpx_eq_u32 s[34:35], v36, s34                  // is thread in edge glvw region
v_and_b32 v32, 63, v[vgprSerial]                   // permute register between threads
v_lshlrev_b32 v32, 2, v32                          // permute register between threads
v_accvgpr_read_b32 v37, acc6                       // glvw 2 mb 1 tt1 0 r 0
v_accvgpr_read_b32 v38, acc7                       // glvw 2 mb 1 tt1 0 r 0
s_nop 1                                            // v_accvgpr read vgpr after write vgpr: 2 wait states
ds_bpermute_b32 v37, v32, v37, offset:128          // permute edge values
ds_bpermute_b32 v38, v32, v38, offset:128          // permute edge values
s_waitcnt 0                                        // wait for swizzle operation
v_accvgpr_write_b32 acc4, v37                      // 
v_accvgpr_write_b32 acc5, v38                      // 
v_accvgpr_read_b32 v37, acc22                      // glvw 2 mb 1 tt1 1 r 0
v_accvgpr_read_b32 v38, acc23                      // glvw 2 mb 1 tt1 1 r 0
s_nop 1                                            // v_accvgpr read vgpr after write vgpr: 2 wait states
ds_bpermute_b32 v37, v32, v37, offset:128          // permute edge values
ds_bpermute_b32 v38, v32, v38, offset:128          // permute edge values
s_waitcnt 0                                        // wait for swizzle operation
v_accvgpr_write_b32 acc20, v37                     // 
v_accvgpr_write_b32 acc21, v38                     // 
s_mov_b64 s[34:35], 0xFFFFFFFFFFFFFFFF             // to restore all threads active
s_or_saveexec_b64 vcc, s[34:35]                    // all threads active
s_branch label_0107                                // done shifting


/******************************************/
/* shift d1 r=2 mb=2 vw0                  */
/******************************************/
label_0059: // r2 mb2 vw0 
s_mov_b32 s34, 2                                   // 
_v_cmpx_eq_u32 s[34:35], v36, s34                  // is thread in edge glvw region
v_and_b32 v32, 63, v[vgprSerial]                   // permute register between threads
v_lshlrev_b32 v32, 2, v32                          // permute register between threads
v_accvgpr_read_b32 v37, acc10                      // glvw 2 mb 2 tt1 0 r 0
v_accvgpr_read_b32 v38, acc11                      // glvw 2 mb 2 tt1 0 r 0
s_nop 1                                            // v_accvgpr read vgpr after write vgpr: 2 wait states
ds_bpermute_b32 v37, v32, v37, offset:128          // permute edge values
ds_bpermute_b32 v38, v32, v38, offset:128          // permute edge values
s_waitcnt 0                                        // wait for swizzle operation
v_accvgpr_write_b32 acc8, v37                      // 
v_accvgpr_write_b32 acc9, v38                      // 
v_accvgpr_read_b32 v37, acc26                      // glvw 2 mb 2 tt1 1 r 0
v_accvgpr_read_b32 v38, acc27                      // glvw 2 mb 2 tt1 1 r 0
s_nop 1                                            // v_accvgpr read vgpr after write vgpr: 2 wait states
ds_bpermute_b32 v37, v32, v37, offset:128          // permute edge values
ds_bpermute_b32 v38, v32, v38, offset:128          // permute edge values
s_waitcnt 0                                        // wait for swizzle operation
v_accvgpr_write_b32 acc24, v37                     // 
v_accvgpr_write_b32 acc25, v38                     // 
s_mov_b64 s[34:35], 0xFFFFFFFFFFFFFFFF             // to restore all threads active
s_or_saveexec_b64 vcc, s[34:35]                    // all threads active
s_branch label_0107                                // done shifting


/******************************************/
/* shift d1 r=2 mb=3 vw0                  */
/******************************************/
label_0061: // r2 mb3 vw0 
s_mov_b32 s34, 3                                   // 
_v_cmpx_eq_u32 s[34:35], v36, s34                  // is thread in edge glvw region
v_and_b32 v32, 63, v[vgprSerial]                   // permute register between threads
v_lshlrev_b32 v32, 2, v32                          // permute register between threads
v_accvgpr_read_b32 v37, acc14                      // glvw 2 mb 3 tt1 0 r 0
v_accvgpr_read_b32 v38, acc15                      // glvw 2 mb 3 tt1 0 r 0
s_nop 1                                            // v_accvgpr read vgpr after write vgpr: 2 wait states
ds_bpermute_b32 v37, v32, v37, offset:128          // permute edge values
ds_bpermute_b32 v38, v32, v38, offset:128          // permute edge values
s_waitcnt 0                                        // wait for swizzle operation
v_accvgpr_write_b32 acc12, v37                     // 
v_accvgpr_write_b32 acc13, v38                     // 
v_accvgpr_read_b32 v37, acc30                      // glvw 2 mb 3 tt1 1 r 0
v_accvgpr_read_b32 v38, acc31                      // glvw 2 mb 3 tt1 1 r 0
s_nop 1                                            // v_accvgpr read vgpr after write vgpr: 2 wait states
ds_bpermute_b32 v37, v32, v37, offset:128          // permute edge values
ds_bpermute_b32 v38, v32, v38, offset:128          // permute edge values
s_waitcnt 0                                        // wait for swizzle operation
v_accvgpr_write_b32 acc28, v37                     // 
v_accvgpr_write_b32 acc29, v38                     // 
s_mov_b64 s[34:35], 0xFFFFFFFFFFFFFFFF             // to restore all threads active
s_or_saveexec_b64 vcc, s[34:35]                    // all threads active
s_branch label_0107                                // done shifting


/******************************************/
/* shift d1 r=3 mb=0 vw0                  */
/******************************************/
label_0064: // r3 mb0 vw0 
s_mov_b32 s34, 0                                   // 
_v_cmpx_eq_u32 s[34:35], v36, s34                  // is thread in edge glvw region
v_and_b32 v32, 63, v[vgprSerial]                   // permute register between threads
v_lshlrev_b32 v32, 2, v32                          // permute register between threads
v_accvgpr_read_b32 v37, acc1                       // glvw 3 mb 0 tt1 0 r 0
v_accvgpr_read_b32 v38, acc2                       // glvw 3 mb 0 tt1 0 r 0
v_accvgpr_read_b32 v39, acc3                       // glvw 3 mb 0 tt1 0 r 0
s_nop 1                                            // v_accvgpr read vgpr after write vgpr: 2 wait states
ds_bpermute_b32 v37, v32, v37, offset:128          // permute edge values
ds_bpermute_b32 v38, v32, v38, offset:128          // permute edge values
	;; [unrolled: 1-line block ×3, first 2 shown]
s_waitcnt 0                                        // wait for swizzle operation
v_accvgpr_write_b32 acc0, v37                      // 
v_accvgpr_write_b32 acc1, v38                      // 
v_accvgpr_write_b32 acc2, v39                      // 
v_accvgpr_read_b32 v37, acc17                      // glvw 3 mb 0 tt1 1 r 0
v_accvgpr_read_b32 v38, acc18                      // glvw 3 mb 0 tt1 1 r 0
v_accvgpr_read_b32 v39, acc19                      // glvw 3 mb 0 tt1 1 r 0
s_nop 1                                            // v_accvgpr read vgpr after write vgpr: 2 wait states
ds_bpermute_b32 v37, v32, v37, offset:128          // permute edge values
ds_bpermute_b32 v38, v32, v38, offset:128          // permute edge values
	;; [unrolled: 1-line block ×3, first 2 shown]
s_waitcnt 0                                        // wait for swizzle operation
v_accvgpr_write_b32 acc16, v37                     // 
v_accvgpr_write_b32 acc17, v38                     // 
v_accvgpr_write_b32 acc18, v39                     // 
s_mov_b64 s[34:35], 0xFFFFFFFFFFFFFFFF             // to restore all threads active
s_or_saveexec_b64 vcc, s[34:35]                    // all threads active
s_branch label_0107                                // done shifting


/******************************************/
/* shift d1 r=3 mb=1 vw0                  */
/******************************************/
label_0066: // r3 mb1 vw0 
s_mov_b32 s34, 1                                   // 
_v_cmpx_eq_u32 s[34:35], v36, s34                  // is thread in edge glvw region
v_and_b32 v32, 63, v[vgprSerial]                   // permute register between threads
v_lshlrev_b32 v32, 2, v32                          // permute register between threads
v_accvgpr_read_b32 v37, acc5                       // glvw 3 mb 1 tt1 0 r 0
v_accvgpr_read_b32 v38, acc6                       // glvw 3 mb 1 tt1 0 r 0
v_accvgpr_read_b32 v39, acc7                       // glvw 3 mb 1 tt1 0 r 0
s_nop 1                                            // v_accvgpr read vgpr after write vgpr: 2 wait states
ds_bpermute_b32 v37, v32, v37, offset:128          // permute edge values
ds_bpermute_b32 v38, v32, v38, offset:128          // permute edge values
	;; [unrolled: 1-line block ×3, first 2 shown]
s_waitcnt 0                                        // wait for swizzle operation
v_accvgpr_write_b32 acc4, v37                      // 
v_accvgpr_write_b32 acc5, v38                      // 
v_accvgpr_write_b32 acc6, v39                      // 
v_accvgpr_read_b32 v37, acc21                      // glvw 3 mb 1 tt1 1 r 0
v_accvgpr_read_b32 v38, acc22                      // glvw 3 mb 1 tt1 1 r 0
v_accvgpr_read_b32 v39, acc23                      // glvw 3 mb 1 tt1 1 r 0
s_nop 1                                            // v_accvgpr read vgpr after write vgpr: 2 wait states
ds_bpermute_b32 v37, v32, v37, offset:128          // permute edge values
ds_bpermute_b32 v38, v32, v38, offset:128          // permute edge values
	;; [unrolled: 1-line block ×3, first 2 shown]
s_waitcnt 0                                        // wait for swizzle operation
v_accvgpr_write_b32 acc20, v37                     // 
v_accvgpr_write_b32 acc21, v38                     // 
v_accvgpr_write_b32 acc22, v39                     // 
s_mov_b64 s[34:35], 0xFFFFFFFFFFFFFFFF             // to restore all threads active
s_or_saveexec_b64 vcc, s[34:35]                    // all threads active
s_branch label_0107                                // done shifting


/******************************************/
/* shift d1 r=3 mb=2 vw0                  */
/******************************************/
label_0068: // r3 mb2 vw0 
s_mov_b32 s34, 2                                   // 
_v_cmpx_eq_u32 s[34:35], v36, s34                  // is thread in edge glvw region
v_and_b32 v32, 63, v[vgprSerial]                   // permute register between threads
v_lshlrev_b32 v32, 2, v32                          // permute register between threads
v_accvgpr_read_b32 v37, acc9                       // glvw 3 mb 2 tt1 0 r 0
v_accvgpr_read_b32 v38, acc10                      // glvw 3 mb 2 tt1 0 r 0
v_accvgpr_read_b32 v39, acc11                      // glvw 3 mb 2 tt1 0 r 0
s_nop 1                                            // v_accvgpr read vgpr after write vgpr: 2 wait states
ds_bpermute_b32 v37, v32, v37, offset:128          // permute edge values
ds_bpermute_b32 v38, v32, v38, offset:128          // permute edge values
	;; [unrolled: 1-line block ×3, first 2 shown]
s_waitcnt 0                                        // wait for swizzle operation
v_accvgpr_write_b32 acc8, v37                      // 
v_accvgpr_write_b32 acc9, v38                      // 
v_accvgpr_write_b32 acc10, v39                     // 
v_accvgpr_read_b32 v37, acc25                      // glvw 3 mb 2 tt1 1 r 0
v_accvgpr_read_b32 v38, acc26                      // glvw 3 mb 2 tt1 1 r 0
v_accvgpr_read_b32 v39, acc27                      // glvw 3 mb 2 tt1 1 r 0
s_nop 1                                            // v_accvgpr read vgpr after write vgpr: 2 wait states
ds_bpermute_b32 v37, v32, v37, offset:128          // permute edge values
ds_bpermute_b32 v38, v32, v38, offset:128          // permute edge values
	;; [unrolled: 1-line block ×3, first 2 shown]
s_waitcnt 0                                        // wait for swizzle operation
v_accvgpr_write_b32 acc24, v37                     // 
v_accvgpr_write_b32 acc25, v38                     // 
v_accvgpr_write_b32 acc26, v39                     // 
s_mov_b64 s[34:35], 0xFFFFFFFFFFFFFFFF             // to restore all threads active
s_or_saveexec_b64 vcc, s[34:35]                    // all threads active
s_branch label_0107                                // done shifting


/******************************************/
/* shift d1 r=3 mb=3 vw0                  */
/******************************************/
label_0070: // r3 mb3 vw0 
s_mov_b32 s34, 3                                   // 
_v_cmpx_eq_u32 s[34:35], v36, s34                  // is thread in edge glvw region
v_and_b32 v32, 63, v[vgprSerial]                   // permute register between threads
v_lshlrev_b32 v32, 2, v32                          // permute register between threads
v_accvgpr_read_b32 v37, acc13                      // glvw 3 mb 3 tt1 0 r 0
v_accvgpr_read_b32 v38, acc14                      // glvw 3 mb 3 tt1 0 r 0
v_accvgpr_read_b32 v39, acc15                      // glvw 3 mb 3 tt1 0 r 0
s_nop 1                                            // v_accvgpr read vgpr after write vgpr: 2 wait states
ds_bpermute_b32 v37, v32, v37, offset:128          // permute edge values
ds_bpermute_b32 v38, v32, v38, offset:128          // permute edge values
	;; [unrolled: 1-line block ×3, first 2 shown]
s_waitcnt 0                                        // wait for swizzle operation
v_accvgpr_write_b32 acc12, v37                     // 
v_accvgpr_write_b32 acc13, v38                     // 
v_accvgpr_write_b32 acc14, v39                     // 
v_accvgpr_read_b32 v37, acc29                      // glvw 3 mb 3 tt1 1 r 0
v_accvgpr_read_b32 v38, acc30                      // glvw 3 mb 3 tt1 1 r 0
v_accvgpr_read_b32 v39, acc31                      // glvw 3 mb 3 tt1 1 r 0
s_nop 1                                            // v_accvgpr read vgpr after write vgpr: 2 wait states
ds_bpermute_b32 v37, v32, v37, offset:128          // permute edge values
ds_bpermute_b32 v38, v32, v38, offset:128          // permute edge values
	;; [unrolled: 1-line block ×3, first 2 shown]
s_waitcnt 0                                        // wait for swizzle operation
v_accvgpr_write_b32 acc28, v37                     // 
v_accvgpr_write_b32 acc29, v38                     // 
v_accvgpr_write_b32 acc30, v39                     // 
s_mov_b64 s[34:35], 0xFFFFFFFFFFFFFFFF             // to restore all threads active
s_or_saveexec_b64 vcc, s[34:35]                    // all threads active
s_branch label_0107                                // done shifting


/******************************************/
/* shift d1 r=4 mb=0 vw0                  */
/******************************************/
label_0073: // r4 mb0 vw0 
s_mov_b32 s34, 0                                   // 
_v_cmpx_eq_u32 s[34:35], v36, s34                  // is thread in edge glvw region
v_and_b32 v32, 63, v[vgprSerial]                   // permute register between threads
v_lshlrev_b32 v32, 2, v32                          // permute register between threads
v_accvgpr_read_b32 v37, acc0                       // glvw 4 mb 0 tt1 0 r 0
v_accvgpr_read_b32 v38, acc1                       // glvw 4 mb 0 tt1 0 r 0
v_accvgpr_read_b32 v39, acc2                       // glvw 4 mb 0 tt1 0 r 0
v_accvgpr_read_b32 v40, acc3                       // glvw 4 mb 0 tt1 0 r 0
s_nop 1                                            // v_accvgpr read vgpr after write vgpr: 2 wait states
ds_bpermute_b32 v37, v32, v37, offset:128          // permute edge values
ds_bpermute_b32 v38, v32, v38, offset:128          // permute edge values
	;; [unrolled: 1-line block ×4, first 2 shown]
s_waitcnt 0                                        // wait for swizzle operation
v_accvgpr_write_b32 acc0, v37                      // 
v_accvgpr_write_b32 acc1, v38                      // 
v_accvgpr_write_b32 acc2, v39                      // 
v_accvgpr_write_b32 acc3, v40                      // 
v_accvgpr_read_b32 v37, acc16                      // glvw 4 mb 0 tt1 1 r 0
v_accvgpr_read_b32 v38, acc17                      // glvw 4 mb 0 tt1 1 r 0
v_accvgpr_read_b32 v39, acc18                      // glvw 4 mb 0 tt1 1 r 0
v_accvgpr_read_b32 v40, acc19                      // glvw 4 mb 0 tt1 1 r 0
s_nop 1                                            // v_accvgpr read vgpr after write vgpr: 2 wait states
ds_bpermute_b32 v37, v32, v37, offset:128          // permute edge values
ds_bpermute_b32 v38, v32, v38, offset:128          // permute edge values
	;; [unrolled: 1-line block ×4, first 2 shown]
s_waitcnt 0                                        // wait for swizzle operation
v_accvgpr_write_b32 acc16, v37                     // 
v_accvgpr_write_b32 acc17, v38                     // 
v_accvgpr_write_b32 acc18, v39                     // 
v_accvgpr_write_b32 acc19, v40                     // 
s_mov_b64 s[34:35], 0xFFFFFFFFFFFFFFFF             // to restore all threads active
s_or_saveexec_b64 vcc, s[34:35]                    // all threads active
s_branch label_0107                                // done shifting


/******************************************/
/* shift d1 r=4 mb=1 vw0                  */
/******************************************/
label_0075: // r4 mb1 vw0 
s_mov_b32 s34, 1                                   // 
_v_cmpx_eq_u32 s[34:35], v36, s34                  // is thread in edge glvw region
v_and_b32 v32, 63, v[vgprSerial]                   // permute register between threads
v_lshlrev_b32 v32, 2, v32                          // permute register between threads
v_accvgpr_read_b32 v37, acc4                       // glvw 4 mb 1 tt1 0 r 0
v_accvgpr_read_b32 v38, acc5                       // glvw 4 mb 1 tt1 0 r 0
v_accvgpr_read_b32 v39, acc6                       // glvw 4 mb 1 tt1 0 r 0
v_accvgpr_read_b32 v40, acc7                       // glvw 4 mb 1 tt1 0 r 0
s_nop 1                                            // v_accvgpr read vgpr after write vgpr: 2 wait states
ds_bpermute_b32 v37, v32, v37, offset:128          // permute edge values
ds_bpermute_b32 v38, v32, v38, offset:128          // permute edge values
	;; [unrolled: 1-line block ×4, first 2 shown]
s_waitcnt 0                                        // wait for swizzle operation
v_accvgpr_write_b32 acc4, v37                      // 
v_accvgpr_write_b32 acc5, v38                      // 
v_accvgpr_write_b32 acc6, v39                      // 
v_accvgpr_write_b32 acc7, v40                      // 
v_accvgpr_read_b32 v37, acc20                      // glvw 4 mb 1 tt1 1 r 0
v_accvgpr_read_b32 v38, acc21                      // glvw 4 mb 1 tt1 1 r 0
v_accvgpr_read_b32 v39, acc22                      // glvw 4 mb 1 tt1 1 r 0
v_accvgpr_read_b32 v40, acc23                      // glvw 4 mb 1 tt1 1 r 0
s_nop 1                                            // v_accvgpr read vgpr after write vgpr: 2 wait states
ds_bpermute_b32 v37, v32, v37, offset:128          // permute edge values
ds_bpermute_b32 v38, v32, v38, offset:128          // permute edge values
	;; [unrolled: 1-line block ×4, first 2 shown]
s_waitcnt 0                                        // wait for swizzle operation
v_accvgpr_write_b32 acc20, v37                     // 
v_accvgpr_write_b32 acc21, v38                     // 
v_accvgpr_write_b32 acc22, v39                     // 
v_accvgpr_write_b32 acc23, v40                     // 
s_mov_b64 s[34:35], 0xFFFFFFFFFFFFFFFF             // to restore all threads active
s_or_saveexec_b64 vcc, s[34:35]                    // all threads active
s_branch label_0107                                // done shifting


/******************************************/
/* shift d1 r=4 mb=2 vw0                  */
/******************************************/
label_0077: // r4 mb2 vw0 
s_mov_b32 s34, 2                                   // 
_v_cmpx_eq_u32 s[34:35], v36, s34                  // is thread in edge glvw region
v_and_b32 v32, 63, v[vgprSerial]                   // permute register between threads
v_lshlrev_b32 v32, 2, v32                          // permute register between threads
v_accvgpr_read_b32 v37, acc8                       // glvw 4 mb 2 tt1 0 r 0
v_accvgpr_read_b32 v38, acc9                       // glvw 4 mb 2 tt1 0 r 0
v_accvgpr_read_b32 v39, acc10                      // glvw 4 mb 2 tt1 0 r 0
v_accvgpr_read_b32 v40, acc11                      // glvw 4 mb 2 tt1 0 r 0
s_nop 1                                            // v_accvgpr read vgpr after write vgpr: 2 wait states
ds_bpermute_b32 v37, v32, v37, offset:128          // permute edge values
ds_bpermute_b32 v38, v32, v38, offset:128          // permute edge values
ds_bpermute_b32 v39, v32, v39, offset:128          // permute edge values
ds_bpermute_b32 v40, v32, v40, offset:128          // permute edge values
s_waitcnt 0                                        // wait for swizzle operation
v_accvgpr_write_b32 acc8, v37                      // 
v_accvgpr_write_b32 acc9, v38                      // 
v_accvgpr_write_b32 acc10, v39                     // 
v_accvgpr_write_b32 acc11, v40                     // 
v_accvgpr_read_b32 v37, acc24                      // glvw 4 mb 2 tt1 1 r 0
v_accvgpr_read_b32 v38, acc25                      // glvw 4 mb 2 tt1 1 r 0
v_accvgpr_read_b32 v39, acc26                      // glvw 4 mb 2 tt1 1 r 0
v_accvgpr_read_b32 v40, acc27                      // glvw 4 mb 2 tt1 1 r 0
s_nop 1                                            // v_accvgpr read vgpr after write vgpr: 2 wait states
ds_bpermute_b32 v37, v32, v37, offset:128          // permute edge values
ds_bpermute_b32 v38, v32, v38, offset:128          // permute edge values
	;; [unrolled: 1-line block ×4, first 2 shown]
s_waitcnt 0                                        // wait for swizzle operation
v_accvgpr_write_b32 acc24, v37                     // 
v_accvgpr_write_b32 acc25, v38                     // 
v_accvgpr_write_b32 acc26, v39                     // 
v_accvgpr_write_b32 acc27, v40                     // 
s_mov_b64 s[34:35], 0xFFFFFFFFFFFFFFFF             // to restore all threads active
s_or_saveexec_b64 vcc, s[34:35]                    // all threads active
s_branch label_0107                                // done shifting


/******************************************/
/* shift d1 r=4 mb=3 vw0                  */
/******************************************/
label_0079: // r4 mb3 vw0 
s_mov_b32 s34, 3                                   // 
_v_cmpx_eq_u32 s[34:35], v36, s34                  // is thread in edge glvw region
v_and_b32 v32, 63, v[vgprSerial]                   // permute register between threads
v_lshlrev_b32 v32, 2, v32                          // permute register between threads
v_accvgpr_read_b32 v37, acc12                      // glvw 4 mb 3 tt1 0 r 0
v_accvgpr_read_b32 v38, acc13                      // glvw 4 mb 3 tt1 0 r 0
v_accvgpr_read_b32 v39, acc14                      // glvw 4 mb 3 tt1 0 r 0
v_accvgpr_read_b32 v40, acc15                      // glvw 4 mb 3 tt1 0 r 0
s_nop 1                                            // v_accvgpr read vgpr after write vgpr: 2 wait states
ds_bpermute_b32 v37, v32, v37, offset:128          // permute edge values
ds_bpermute_b32 v38, v32, v38, offset:128          // permute edge values
	;; [unrolled: 1-line block ×4, first 2 shown]
s_waitcnt 0                                        // wait for swizzle operation
v_accvgpr_write_b32 acc12, v37                     // 
v_accvgpr_write_b32 acc13, v38                     // 
v_accvgpr_write_b32 acc14, v39                     // 
v_accvgpr_write_b32 acc15, v40                     // 
v_accvgpr_read_b32 v37, acc28                      // glvw 4 mb 3 tt1 1 r 0
v_accvgpr_read_b32 v38, acc29                      // glvw 4 mb 3 tt1 1 r 0
v_accvgpr_read_b32 v39, acc30                      // glvw 4 mb 3 tt1 1 r 0
v_accvgpr_read_b32 v40, acc31                      // glvw 4 mb 3 tt1 1 r 0
s_nop 1                                            // v_accvgpr read vgpr after write vgpr: 2 wait states
ds_bpermute_b32 v37, v32, v37, offset:128          // permute edge values
ds_bpermute_b32 v38, v32, v38, offset:128          // permute edge values
	;; [unrolled: 1-line block ×4, first 2 shown]
s_waitcnt 0                                        // wait for swizzle operation
v_accvgpr_write_b32 acc28, v37                     // 
v_accvgpr_write_b32 acc29, v38                     // 
v_accvgpr_write_b32 acc30, v39                     // 
v_accvgpr_write_b32 acc31, v40                     // 
s_mov_b64 s[34:35], 0xFFFFFFFFFFFFFFFF             // to restore all threads active
s_or_saveexec_b64 vcc, s[34:35]                    // all threads active
s_branch label_0107                                // done shifting


/******************************************/
/* shift d1 r=5 mb=0 vw0                  */
/******************************************/
label_0082: // r5 mb0 vw0 
s_mov_b32 s34, 0                                   // 
_v_cmpx_eq_u32 s[34:35], v36, s34                  // is thread in edge glvw region
v_and_b32 v32, 63, v[vgprSerial]                   // permute register between threads
v_lshlrev_b32 v32, 2, v32                          // permute register between threads
v_accvgpr_read_b32 v37, acc3                       // glvw 5 mb 0 tt1 0 r 0
v_accvgpr_read_b32 v38, acc0                       // glvw 5 mb 0 tt1 0 r 0
v_accvgpr_read_b32 v39, acc1                       // glvw 5 mb 0 tt1 0 r 0
v_accvgpr_read_b32 v40, acc2                       // glvw 5 mb 0 tt1 0 r 0
s_nop 1                                            // v_accvgpr read vgpr after write vgpr: 2 wait states
ds_bpermute_b32 v38, v32, v38, offset:128          // permute edge values
ds_bpermute_b32 v39, v32, v39, offset:128          // permute edge values
	;; [unrolled: 1-line block ×3, first 2 shown]
s_waitcnt 0                                        // wait for swizzle operation
v_accvgpr_write_b32 acc0, v37                      // 
v_accvgpr_write_b32 acc1, v38                      // 
v_accvgpr_write_b32 acc2, v39                      // 
v_accvgpr_write_b32 acc3, v40                      // 
v_accvgpr_read_b32 v37, acc19                      // glvw 5 mb 0 tt1 1 r 0
v_accvgpr_read_b32 v38, acc16                      // glvw 5 mb 0 tt1 1 r 0
v_accvgpr_read_b32 v39, acc17                      // glvw 5 mb 0 tt1 1 r 0
v_accvgpr_read_b32 v40, acc18                      // glvw 5 mb 0 tt1 1 r 0
s_nop 1                                            // v_accvgpr read vgpr after write vgpr: 2 wait states
ds_bpermute_b32 v38, v32, v38, offset:128          // permute edge values
ds_bpermute_b32 v39, v32, v39, offset:128          // permute edge values
	;; [unrolled: 1-line block ×3, first 2 shown]
s_waitcnt 0                                        // wait for swizzle operation
v_accvgpr_write_b32 acc16, v37                     // 
v_accvgpr_write_b32 acc17, v38                     // 
v_accvgpr_write_b32 acc18, v39                     // 
v_accvgpr_write_b32 acc19, v40                     // 
s_mov_b64 s[34:35], 0xFFFFFFFFFFFFFFFF             // to restore all threads active
s_or_saveexec_b64 vcc, s[34:35]                    // all threads active
s_branch label_0107                                // done shifting


/******************************************/
/* shift d1 r=5 mb=1 vw0                  */
/******************************************/
label_0084: // r5 mb1 vw0 
s_mov_b32 s34, 1                                   // 
_v_cmpx_eq_u32 s[34:35], v36, s34                  // is thread in edge glvw region
v_and_b32 v32, 63, v[vgprSerial]                   // permute register between threads
v_lshlrev_b32 v32, 2, v32                          // permute register between threads
v_accvgpr_read_b32 v37, acc7                       // glvw 5 mb 1 tt1 0 r 0
v_accvgpr_read_b32 v38, acc4                       // glvw 5 mb 1 tt1 0 r 0
v_accvgpr_read_b32 v39, acc5                       // glvw 5 mb 1 tt1 0 r 0
v_accvgpr_read_b32 v40, acc6                       // glvw 5 mb 1 tt1 0 r 0
s_nop 1                                            // v_accvgpr read vgpr after write vgpr: 2 wait states
ds_bpermute_b32 v38, v32, v38, offset:128          // permute edge values
ds_bpermute_b32 v39, v32, v39, offset:128          // permute edge values
	;; [unrolled: 1-line block ×3, first 2 shown]
s_waitcnt 0                                        // wait for swizzle operation
v_accvgpr_write_b32 acc4, v37                      // 
v_accvgpr_write_b32 acc5, v38                      // 
v_accvgpr_write_b32 acc6, v39                      // 
v_accvgpr_write_b32 acc7, v40                      // 
v_accvgpr_read_b32 v37, acc23                      // glvw 5 mb 1 tt1 1 r 0
v_accvgpr_read_b32 v38, acc20                      // glvw 5 mb 1 tt1 1 r 0
v_accvgpr_read_b32 v39, acc21                      // glvw 5 mb 1 tt1 1 r 0
v_accvgpr_read_b32 v40, acc22                      // glvw 5 mb 1 tt1 1 r 0
s_nop 1                                            // v_accvgpr read vgpr after write vgpr: 2 wait states
ds_bpermute_b32 v38, v32, v38, offset:128          // permute edge values
ds_bpermute_b32 v39, v32, v39, offset:128          // permute edge values
	;; [unrolled: 1-line block ×3, first 2 shown]
s_waitcnt 0                                        // wait for swizzle operation
v_accvgpr_write_b32 acc20, v37                     // 
v_accvgpr_write_b32 acc21, v38                     // 
v_accvgpr_write_b32 acc22, v39                     // 
v_accvgpr_write_b32 acc23, v40                     // 
s_mov_b64 s[34:35], 0xFFFFFFFFFFFFFFFF             // to restore all threads active
s_or_saveexec_b64 vcc, s[34:35]                    // all threads active
s_branch label_0107                                // done shifting


/******************************************/
/* shift d1 r=5 mb=2 vw0                  */
/******************************************/
label_0086: // r5 mb2 vw0 
s_mov_b32 s34, 2                                   // 
_v_cmpx_eq_u32 s[34:35], v36, s34                  // is thread in edge glvw region
v_and_b32 v32, 63, v[vgprSerial]                   // permute register between threads
v_lshlrev_b32 v32, 2, v32                          // permute register between threads
v_accvgpr_read_b32 v37, acc11                      // glvw 5 mb 2 tt1 0 r 0
v_accvgpr_read_b32 v38, acc8                       // glvw 5 mb 2 tt1 0 r 0
v_accvgpr_read_b32 v39, acc9                       // glvw 5 mb 2 tt1 0 r 0
v_accvgpr_read_b32 v40, acc10                      // glvw 5 mb 2 tt1 0 r 0
s_nop 1                                            // v_accvgpr read vgpr after write vgpr: 2 wait states
ds_bpermute_b32 v38, v32, v38, offset:128          // permute edge values
ds_bpermute_b32 v39, v32, v39, offset:128          // permute edge values
ds_bpermute_b32 v40, v32, v40, offset:128          // permute edge values
s_waitcnt 0                                        // wait for swizzle operation
v_accvgpr_write_b32 acc8, v37                      // 
v_accvgpr_write_b32 acc9, v38                      // 
v_accvgpr_write_b32 acc10, v39                     // 
v_accvgpr_write_b32 acc11, v40                     // 
v_accvgpr_read_b32 v37, acc27                      // glvw 5 mb 2 tt1 1 r 0
v_accvgpr_read_b32 v38, acc24                      // glvw 5 mb 2 tt1 1 r 0
v_accvgpr_read_b32 v39, acc25                      // glvw 5 mb 2 tt1 1 r 0
v_accvgpr_read_b32 v40, acc26                      // glvw 5 mb 2 tt1 1 r 0
s_nop 1                                            // v_accvgpr read vgpr after write vgpr: 2 wait states
ds_bpermute_b32 v38, v32, v38, offset:128          // permute edge values
ds_bpermute_b32 v39, v32, v39, offset:128          // permute edge values
	;; [unrolled: 1-line block ×3, first 2 shown]
s_waitcnt 0                                        // wait for swizzle operation
v_accvgpr_write_b32 acc24, v37                     // 
v_accvgpr_write_b32 acc25, v38                     // 
v_accvgpr_write_b32 acc26, v39                     // 
v_accvgpr_write_b32 acc27, v40                     // 
s_mov_b64 s[34:35], 0xFFFFFFFFFFFFFFFF             // to restore all threads active
s_or_saveexec_b64 vcc, s[34:35]                    // all threads active
s_branch label_0107                                // done shifting


/******************************************/
/* shift d1 r=5 mb=3 vw0                  */
/******************************************/
label_0088: // r5 mb3 vw0 
s_mov_b32 s34, 3                                   // 
_v_cmpx_eq_u32 s[34:35], v36, s34                  // is thread in edge glvw region
v_and_b32 v32, 63, v[vgprSerial]                   // permute register between threads
v_lshlrev_b32 v32, 2, v32                          // permute register between threads
v_accvgpr_read_b32 v37, acc15                      // glvw 5 mb 3 tt1 0 r 0
v_accvgpr_read_b32 v38, acc12                      // glvw 5 mb 3 tt1 0 r 0
v_accvgpr_read_b32 v39, acc13                      // glvw 5 mb 3 tt1 0 r 0
v_accvgpr_read_b32 v40, acc14                      // glvw 5 mb 3 tt1 0 r 0
s_nop 1                                            // v_accvgpr read vgpr after write vgpr: 2 wait states
ds_bpermute_b32 v38, v32, v38, offset:128          // permute edge values
ds_bpermute_b32 v39, v32, v39, offset:128          // permute edge values
ds_bpermute_b32 v40, v32, v40, offset:128          // permute edge values
s_waitcnt 0                                        // wait for swizzle operation
v_accvgpr_write_b32 acc12, v37                     // 
v_accvgpr_write_b32 acc13, v38                     // 
v_accvgpr_write_b32 acc14, v39                     // 
v_accvgpr_write_b32 acc15, v40                     // 
v_accvgpr_read_b32 v37, acc31                      // glvw 5 mb 3 tt1 1 r 0
v_accvgpr_read_b32 v38, acc28                      // glvw 5 mb 3 tt1 1 r 0
v_accvgpr_read_b32 v39, acc29                      // glvw 5 mb 3 tt1 1 r 0
v_accvgpr_read_b32 v40, acc30                      // glvw 5 mb 3 tt1 1 r 0
s_nop 1                                            // v_accvgpr read vgpr after write vgpr: 2 wait states
ds_bpermute_b32 v38, v32, v38, offset:128          // permute edge values
ds_bpermute_b32 v39, v32, v39, offset:128          // permute edge values
	;; [unrolled: 1-line block ×3, first 2 shown]
s_waitcnt 0                                        // wait for swizzle operation
v_accvgpr_write_b32 acc28, v37                     // 
v_accvgpr_write_b32 acc29, v38                     // 
v_accvgpr_write_b32 acc30, v39                     // 
v_accvgpr_write_b32 acc31, v40                     // 
s_mov_b64 s[34:35], 0xFFFFFFFFFFFFFFFF             // to restore all threads active
s_or_saveexec_b64 vcc, s[34:35]                    // all threads active
s_branch label_0107                                // done shifting


/******************************************/
/* shift d1 r=6 mb=0 vw0                  */
/******************************************/
label_0091: // r6 mb0 vw0 
s_mov_b32 s34, 0                                   // 
_v_cmpx_eq_u32 s[34:35], v36, s34                  // is thread in edge glvw region
v_and_b32 v32, 63, v[vgprSerial]                   // permute register between threads
v_lshlrev_b32 v32, 2, v32                          // permute register between threads
v_accvgpr_read_b32 v37, acc2                       // glvw 6 mb 0 tt1 0 r 0
v_accvgpr_read_b32 v38, acc3                       // glvw 6 mb 0 tt1 0 r 0
v_accvgpr_read_b32 v39, acc0                       // glvw 6 mb 0 tt1 0 r 0
v_accvgpr_read_b32 v40, acc1                       // glvw 6 mb 0 tt1 0 r 0
s_nop 1                                            // v_accvgpr read vgpr after write vgpr: 2 wait states
ds_bpermute_b32 v39, v32, v39, offset:128          // permute edge values
ds_bpermute_b32 v40, v32, v40, offset:128          // permute edge values
s_waitcnt 0                                        // wait for swizzle operation
v_accvgpr_write_b32 acc0, v37                      // 
v_accvgpr_write_b32 acc1, v38                      // 
v_accvgpr_write_b32 acc2, v39                      // 
v_accvgpr_write_b32 acc3, v40                      // 
v_accvgpr_read_b32 v37, acc18                      // glvw 6 mb 0 tt1 1 r 0
v_accvgpr_read_b32 v38, acc19                      // glvw 6 mb 0 tt1 1 r 0
v_accvgpr_read_b32 v39, acc16                      // glvw 6 mb 0 tt1 1 r 0
v_accvgpr_read_b32 v40, acc17                      // glvw 6 mb 0 tt1 1 r 0
s_nop 1                                            // v_accvgpr read vgpr after write vgpr: 2 wait states
ds_bpermute_b32 v39, v32, v39, offset:128          // permute edge values
ds_bpermute_b32 v40, v32, v40, offset:128          // permute edge values
s_waitcnt 0                                        // wait for swizzle operation
v_accvgpr_write_b32 acc16, v37                     // 
v_accvgpr_write_b32 acc17, v38                     // 
v_accvgpr_write_b32 acc18, v39                     // 
v_accvgpr_write_b32 acc19, v40                     // 
s_mov_b64 s[34:35], 0xFFFFFFFFFFFFFFFF             // to restore all threads active
s_or_saveexec_b64 vcc, s[34:35]                    // all threads active
s_branch label_0107                                // done shifting


/******************************************/
/* shift d1 r=6 mb=1 vw0                  */
/******************************************/
label_0093: // r6 mb1 vw0 
s_mov_b32 s34, 1                                   // 
_v_cmpx_eq_u32 s[34:35], v36, s34                  // is thread in edge glvw region
v_and_b32 v32, 63, v[vgprSerial]                   // permute register between threads
v_lshlrev_b32 v32, 2, v32                          // permute register between threads
v_accvgpr_read_b32 v37, acc6                       // glvw 6 mb 1 tt1 0 r 0
v_accvgpr_read_b32 v38, acc7                       // glvw 6 mb 1 tt1 0 r 0
v_accvgpr_read_b32 v39, acc4                       // glvw 6 mb 1 tt1 0 r 0
v_accvgpr_read_b32 v40, acc5                       // glvw 6 mb 1 tt1 0 r 0
s_nop 1                                            // v_accvgpr read vgpr after write vgpr: 2 wait states
ds_bpermute_b32 v39, v32, v39, offset:128          // permute edge values
ds_bpermute_b32 v40, v32, v40, offset:128          // permute edge values
s_waitcnt 0                                        // wait for swizzle operation
v_accvgpr_write_b32 acc4, v37                      // 
v_accvgpr_write_b32 acc5, v38                      // 
v_accvgpr_write_b32 acc6, v39                      // 
v_accvgpr_write_b32 acc7, v40                      // 
v_accvgpr_read_b32 v37, acc22                      // glvw 6 mb 1 tt1 1 r 0
v_accvgpr_read_b32 v38, acc23                      // glvw 6 mb 1 tt1 1 r 0
v_accvgpr_read_b32 v39, acc20                      // glvw 6 mb 1 tt1 1 r 0
v_accvgpr_read_b32 v40, acc21                      // glvw 6 mb 1 tt1 1 r 0
s_nop 1                                            // v_accvgpr read vgpr after write vgpr: 2 wait states
ds_bpermute_b32 v39, v32, v39, offset:128          // permute edge values
ds_bpermute_b32 v40, v32, v40, offset:128          // permute edge values
s_waitcnt 0                                        // wait for swizzle operation
v_accvgpr_write_b32 acc20, v37                     // 
v_accvgpr_write_b32 acc21, v38                     // 
v_accvgpr_write_b32 acc22, v39                     // 
v_accvgpr_write_b32 acc23, v40                     // 
s_mov_b64 s[34:35], 0xFFFFFFFFFFFFFFFF             // to restore all threads active
s_or_saveexec_b64 vcc, s[34:35]                    // all threads active
s_branch label_0107                                // done shifting


/******************************************/
/* shift d1 r=6 mb=2 vw0                  */
/******************************************/
label_0095: // r6 mb2 vw0 
s_mov_b32 s34, 2                                   // 
_v_cmpx_eq_u32 s[34:35], v36, s34                  // is thread in edge glvw region
v_and_b32 v32, 63, v[vgprSerial]                   // permute register between threads
v_lshlrev_b32 v32, 2, v32                          // permute register between threads
v_accvgpr_read_b32 v37, acc10                      // glvw 6 mb 2 tt1 0 r 0
v_accvgpr_read_b32 v38, acc11                      // glvw 6 mb 2 tt1 0 r 0
v_accvgpr_read_b32 v39, acc8                       // glvw 6 mb 2 tt1 0 r 0
v_accvgpr_read_b32 v40, acc9                       // glvw 6 mb 2 tt1 0 r 0
s_nop 1                                            // v_accvgpr read vgpr after write vgpr: 2 wait states
ds_bpermute_b32 v39, v32, v39, offset:128          // permute edge values
ds_bpermute_b32 v40, v32, v40, offset:128          // permute edge values
s_waitcnt 0                                        // wait for swizzle operation
v_accvgpr_write_b32 acc8, v37                      // 
v_accvgpr_write_b32 acc9, v38                      // 
v_accvgpr_write_b32 acc10, v39                     // 
v_accvgpr_write_b32 acc11, v40                     // 
v_accvgpr_read_b32 v37, acc26                      // glvw 6 mb 2 tt1 1 r 0
v_accvgpr_read_b32 v38, acc27                      // glvw 6 mb 2 tt1 1 r 0
v_accvgpr_read_b32 v39, acc24                      // glvw 6 mb 2 tt1 1 r 0
v_accvgpr_read_b32 v40, acc25                      // glvw 6 mb 2 tt1 1 r 0
s_nop 1                                            // v_accvgpr read vgpr after write vgpr: 2 wait states
ds_bpermute_b32 v39, v32, v39, offset:128          // permute edge values
ds_bpermute_b32 v40, v32, v40, offset:128          // permute edge values
s_waitcnt 0                                        // wait for swizzle operation
v_accvgpr_write_b32 acc24, v37                     // 
v_accvgpr_write_b32 acc25, v38                     // 
v_accvgpr_write_b32 acc26, v39                     // 
v_accvgpr_write_b32 acc27, v40                     // 
s_mov_b64 s[34:35], 0xFFFFFFFFFFFFFFFF             // to restore all threads active
s_or_saveexec_b64 vcc, s[34:35]                    // all threads active
s_branch label_0107                                // done shifting


/******************************************/
/* shift d1 r=6 mb=3 vw0                  */
/******************************************/
label_0097: // r6 mb3 vw0 
s_mov_b32 s34, 3                                   // 
_v_cmpx_eq_u32 s[34:35], v36, s34                  // is thread in edge glvw region
v_and_b32 v32, 63, v[vgprSerial]                   // permute register between threads
v_lshlrev_b32 v32, 2, v32                          // permute register between threads
v_accvgpr_read_b32 v37, acc14                      // glvw 6 mb 3 tt1 0 r 0
v_accvgpr_read_b32 v38, acc15                      // glvw 6 mb 3 tt1 0 r 0
v_accvgpr_read_b32 v39, acc12                      // glvw 6 mb 3 tt1 0 r 0
v_accvgpr_read_b32 v40, acc13                      // glvw 6 mb 3 tt1 0 r 0
s_nop 1                                            // v_accvgpr read vgpr after write vgpr: 2 wait states
ds_bpermute_b32 v39, v32, v39, offset:128          // permute edge values
ds_bpermute_b32 v40, v32, v40, offset:128          // permute edge values
s_waitcnt 0                                        // wait for swizzle operation
v_accvgpr_write_b32 acc12, v37                     // 
v_accvgpr_write_b32 acc13, v38                     // 
v_accvgpr_write_b32 acc14, v39                     // 
v_accvgpr_write_b32 acc15, v40                     // 
v_accvgpr_read_b32 v37, acc30                      // glvw 6 mb 3 tt1 1 r 0
v_accvgpr_read_b32 v38, acc31                      // glvw 6 mb 3 tt1 1 r 0
v_accvgpr_read_b32 v39, acc28                      // glvw 6 mb 3 tt1 1 r 0
v_accvgpr_read_b32 v40, acc29                      // glvw 6 mb 3 tt1 1 r 0
s_nop 1                                            // v_accvgpr read vgpr after write vgpr: 2 wait states
ds_bpermute_b32 v39, v32, v39, offset:128          // permute edge values
ds_bpermute_b32 v40, v32, v40, offset:128          // permute edge values
s_waitcnt 0                                        // wait for swizzle operation
v_accvgpr_write_b32 acc28, v37                     // 
v_accvgpr_write_b32 acc29, v38                     // 
v_accvgpr_write_b32 acc30, v39                     // 
v_accvgpr_write_b32 acc31, v40                     // 
s_mov_b64 s[34:35], 0xFFFFFFFFFFFFFFFF             // to restore all threads active
s_or_saveexec_b64 vcc, s[34:35]                    // all threads active
s_branch label_0107                                // done shifting


/******************************************/
/* shift d1 r=7 mb=0 vw0                  */
/******************************************/
label_0100: // r7 mb0 vw0 
s_mov_b32 s34, 0                                   // 
_v_cmpx_eq_u32 s[34:35], v36, s34                  // is thread in edge glvw region
v_and_b32 v32, 63, v[vgprSerial]                   // permute register between threads
v_lshlrev_b32 v32, 2, v32                          // permute register between threads
v_accvgpr_read_b32 v37, acc1                       // glvw 7 mb 0 tt1 0 r 0
v_accvgpr_read_b32 v38, acc2                       // glvw 7 mb 0 tt1 0 r 0
v_accvgpr_read_b32 v39, acc3                       // glvw 7 mb 0 tt1 0 r 0
v_accvgpr_read_b32 v40, acc0                       // glvw 7 mb 0 tt1 0 r 0
s_nop 1                                            // v_accvgpr read vgpr after write vgpr: 2 wait states
ds_bpermute_b32 v40, v32, v40, offset:128          // permute edge values
s_waitcnt 0                                        // wait for swizzle operation
v_accvgpr_write_b32 acc0, v37                      // 
v_accvgpr_write_b32 acc1, v38                      // 
v_accvgpr_write_b32 acc2, v39                      // 
v_accvgpr_write_b32 acc3, v40                      // 
v_accvgpr_read_b32 v37, acc17                      // glvw 7 mb 0 tt1 1 r 0
v_accvgpr_read_b32 v38, acc18                      // glvw 7 mb 0 tt1 1 r 0
v_accvgpr_read_b32 v39, acc19                      // glvw 7 mb 0 tt1 1 r 0
v_accvgpr_read_b32 v40, acc16                      // glvw 7 mb 0 tt1 1 r 0
s_nop 1                                            // v_accvgpr read vgpr after write vgpr: 2 wait states
ds_bpermute_b32 v40, v32, v40, offset:128          // permute edge values
s_waitcnt 0                                        // wait for swizzle operation
v_accvgpr_write_b32 acc16, v37                     // 
v_accvgpr_write_b32 acc17, v38                     // 
v_accvgpr_write_b32 acc18, v39                     // 
v_accvgpr_write_b32 acc19, v40                     // 
s_mov_b64 s[34:35], 0xFFFFFFFFFFFFFFFF             // to restore all threads active
s_or_saveexec_b64 vcc, s[34:35]                    // all threads active
s_branch label_0107                                // done shifting


/******************************************/
/* shift d1 r=7 mb=1 vw0                  */
/******************************************/
label_0102: // r7 mb1 vw0 
s_mov_b32 s34, 1                                   // 
_v_cmpx_eq_u32 s[34:35], v36, s34                  // is thread in edge glvw region
v_and_b32 v32, 63, v[vgprSerial]                   // permute register between threads
v_lshlrev_b32 v32, 2, v32                          // permute register between threads
v_accvgpr_read_b32 v37, acc5                       // glvw 7 mb 1 tt1 0 r 0
v_accvgpr_read_b32 v38, acc6                       // glvw 7 mb 1 tt1 0 r 0
v_accvgpr_read_b32 v39, acc7                       // glvw 7 mb 1 tt1 0 r 0
v_accvgpr_read_b32 v40, acc4                       // glvw 7 mb 1 tt1 0 r 0
s_nop 1                                            // v_accvgpr read vgpr after write vgpr: 2 wait states
ds_bpermute_b32 v40, v32, v40, offset:128          // permute edge values
s_waitcnt 0                                        // wait for swizzle operation
v_accvgpr_write_b32 acc4, v37                      // 
v_accvgpr_write_b32 acc5, v38                      // 
v_accvgpr_write_b32 acc6, v39                      // 
v_accvgpr_write_b32 acc7, v40                      // 
v_accvgpr_read_b32 v37, acc21                      // glvw 7 mb 1 tt1 1 r 0
v_accvgpr_read_b32 v38, acc22                      // glvw 7 mb 1 tt1 1 r 0
v_accvgpr_read_b32 v39, acc23                      // glvw 7 mb 1 tt1 1 r 0
v_accvgpr_read_b32 v40, acc20                      // glvw 7 mb 1 tt1 1 r 0
s_nop 1                                            // v_accvgpr read vgpr after write vgpr: 2 wait states
ds_bpermute_b32 v40, v32, v40, offset:128          // permute edge values
s_waitcnt 0                                        // wait for swizzle operation
v_accvgpr_write_b32 acc20, v37                     // 
v_accvgpr_write_b32 acc21, v38                     // 
v_accvgpr_write_b32 acc22, v39                     // 
v_accvgpr_write_b32 acc23, v40                     // 
s_mov_b64 s[34:35], 0xFFFFFFFFFFFFFFFF             // to restore all threads active
s_or_saveexec_b64 vcc, s[34:35]                    // all threads active
s_branch label_0107                                // done shifting


/******************************************/
/* shift d1 r=7 mb=2 vw0                  */
/******************************************/
label_0104: // r7 mb2 vw0 
s_mov_b32 s34, 2                                   // 
_v_cmpx_eq_u32 s[34:35], v36, s34                  // is thread in edge glvw region
v_and_b32 v32, 63, v[vgprSerial]                   // permute register between threads
v_lshlrev_b32 v32, 2, v32                          // permute register between threads
v_accvgpr_read_b32 v37, acc9                       // glvw 7 mb 2 tt1 0 r 0
v_accvgpr_read_b32 v38, acc10                      // glvw 7 mb 2 tt1 0 r 0
v_accvgpr_read_b32 v39, acc11                      // glvw 7 mb 2 tt1 0 r 0
v_accvgpr_read_b32 v40, acc8                       // glvw 7 mb 2 tt1 0 r 0
s_nop 1                                            // v_accvgpr read vgpr after write vgpr: 2 wait states
ds_bpermute_b32 v40, v32, v40, offset:128          // permute edge values
s_waitcnt 0                                        // wait for swizzle operation
v_accvgpr_write_b32 acc8, v37                      // 
v_accvgpr_write_b32 acc9, v38                      // 
v_accvgpr_write_b32 acc10, v39                     // 
v_accvgpr_write_b32 acc11, v40                     // 
v_accvgpr_read_b32 v37, acc25                      // glvw 7 mb 2 tt1 1 r 0
v_accvgpr_read_b32 v38, acc26                      // glvw 7 mb 2 tt1 1 r 0
v_accvgpr_read_b32 v39, acc27                      // glvw 7 mb 2 tt1 1 r 0
v_accvgpr_read_b32 v40, acc24                      // glvw 7 mb 2 tt1 1 r 0
s_nop 1                                            // v_accvgpr read vgpr after write vgpr: 2 wait states
ds_bpermute_b32 v40, v32, v40, offset:128          // permute edge values
s_waitcnt 0                                        // wait for swizzle operation
v_accvgpr_write_b32 acc24, v37                     // 
v_accvgpr_write_b32 acc25, v38                     // 
v_accvgpr_write_b32 acc26, v39                     // 
v_accvgpr_write_b32 acc27, v40                     // 
s_mov_b64 s[34:35], 0xFFFFFFFFFFFFFFFF             // to restore all threads active
s_or_saveexec_b64 vcc, s[34:35]                    // all threads active
s_branch label_0107                                // done shifting


/******************************************/
/* shift d1 r=7 mb=3 vw0                  */
/******************************************/
label_0106: // r7 mb3 vw0 
s_mov_b32 s34, 3                                   // 
_v_cmpx_eq_u32 s[34:35], v36, s34                  // is thread in edge glvw region
v_and_b32 v32, 63, v[vgprSerial]                   // permute register between threads
v_lshlrev_b32 v32, 2, v32                          // permute register between threads
v_accvgpr_read_b32 v37, acc13                      // glvw 7 mb 3 tt1 0 r 0
v_accvgpr_read_b32 v38, acc14                      // glvw 7 mb 3 tt1 0 r 0
v_accvgpr_read_b32 v39, acc15                      // glvw 7 mb 3 tt1 0 r 0
v_accvgpr_read_b32 v40, acc12                      // glvw 7 mb 3 tt1 0 r 0
s_nop 1                                            // v_accvgpr read vgpr after write vgpr: 2 wait states
ds_bpermute_b32 v40, v32, v40, offset:128          // permute edge values
s_waitcnt 0                                        // wait for swizzle operation
v_accvgpr_write_b32 acc12, v37                     // 
v_accvgpr_write_b32 acc13, v38                     // 
v_accvgpr_write_b32 acc14, v39                     // 
v_accvgpr_write_b32 acc15, v40                     // 
v_accvgpr_read_b32 v37, acc29                      // glvw 7 mb 3 tt1 1 r 0
v_accvgpr_read_b32 v38, acc30                      // glvw 7 mb 3 tt1 1 r 0
v_accvgpr_read_b32 v39, acc31                      // glvw 7 mb 3 tt1 1 r 0
v_accvgpr_read_b32 v40, acc28                      // glvw 7 mb 3 tt1 1 r 0
s_nop 1                                            // v_accvgpr read vgpr after write vgpr: 2 wait states
ds_bpermute_b32 v40, v32, v40, offset:128          // permute edge values
s_waitcnt 0                                        // wait for swizzle operation
v_accvgpr_write_b32 acc28, v37                     // 
v_accvgpr_write_b32 acc29, v38                     // 
v_accvgpr_write_b32 acc30, v39                     // 
v_accvgpr_write_b32 acc31, v40                     // 
s_mov_b64 s[34:35], 0xFFFFFFFFFFFFFFFF             // to restore all threads active
s_or_saveexec_b64 vcc, s[34:35]                    // all threads active
s_branch label_0107                                // done shifting

label_0107: // end shift0


	;; [unrolled: 1-line block ×3, first 2 shown]
/******************************************/
/* LocalSplitU Reduction                  */
/******************************************/

// Skip force waitcnt0
s_barrier //


/* LocalSplitU: local write */


/* Mapping of Acc register -> C Vgpr register */
v_lshrrev_b32 v36, 6, v[vgprSerial]                // v36 = v[vgprSerial] / 64
v_lshrrev_b32 v34, 1, v36                          // v34 = v36 / 2
v_and_b32 v35, 1, v36                              // v35 = v36 % 2
v_and_b32 v33, 63, v[vgprSerial]                   // v33 = v[vgprSerial] % 64
v_lshrrev_b32 v33, 5, v33                          // v33 = v33 / 32
v_lshlrev_b32 v33, 0x2, v33                        // thread0 * continuous_output
v_lshrrev_b32 v36, 0, v35                          // v36 = v35 / 1
v_mul_lo_u32 v36, 0x20, v36                        // wave coordination offset 1
_v_add_u32 v33, v36, v33                           // coordination 1 = wave_id1 + tid1
                                                   // coordination 1 *= vwB (multiplier is 1, do nothing)
v_lshlrev_b32 v33, 0x8, v33                        // coordination 1 *= (MT0*bpe)
v_lshlrev_b32 v34, 0xe, v34                        // sgOffset = sg_id * (MT0*MT1*bpe)
_v_add_u32 v33, v34, v33                           // tid1 += sgOffset
v_and_b32 v32, 31, v[vgprSerial]                   // v32 = v[vgprSerial] % 32
v_lshlrev_b32 v32, 0x3, v32                        // coordination 0 *= (VWA*bpe)
_v_add_u32 v32, v33, v32                           // tid = tid0 + tid1
v_accvgpr_read_b32 v[vgprValuC+34], acc0 // copy acc to vreg[0]
v_accvgpr_read_b32 v[vgprValuC+35], acc16 // copy acc to vreg[1]
s_nop 1                                            // 2 wait states required before reading vgpr
_ds_store_b64 v32, v[vgprValuC+34:vgprValuC+34+1], offset:0 // 
v_accvgpr_read_b32 v[vgprValuC+34], acc1 // copy acc to vreg[2]
v_accvgpr_read_b32 v[vgprValuC+35], acc17 // copy acc to vreg[3]
s_nop 1                                            // 2 wait states required before reading vgpr
_ds_store_b64 v32, v[vgprValuC+34:vgprValuC+34+1], offset:256 // 
v_accvgpr_read_b32 v[vgprValuC+34], acc2 // copy acc to vreg[4]
v_accvgpr_read_b32 v[vgprValuC+35], acc18 // copy acc to vreg[5]
s_nop 1                                            // 2 wait states required before reading vgpr
_ds_store_b64 v32, v[vgprValuC+34:vgprValuC+34+1], offset:512 // 
v_accvgpr_read_b32 v[vgprValuC+34], acc3 // copy acc to vreg[6]
v_accvgpr_read_b32 v[vgprValuC+35], acc19 // copy acc to vreg[7]
s_nop 1                                            // 2 wait states required before reading vgpr
_ds_store_b64 v32, v[vgprValuC+34:vgprValuC+34+1], offset:768 // 
v_accvgpr_read_b32 v[vgprValuC+34], acc4 // copy acc to vreg[8]
v_accvgpr_read_b32 v[vgprValuC+35], acc20 // copy acc to vreg[9]
s_nop 1                                            // 2 wait states required before reading vgpr
_ds_store_b64 v32, v[vgprValuC+34:vgprValuC+34+1], offset:2048 // 
v_accvgpr_read_b32 v[vgprValuC+34], acc5 // copy acc to vreg[10]
v_accvgpr_read_b32 v[vgprValuC+35], acc21 // copy acc to vreg[11]
s_nop 1                                            // 2 wait states required before reading vgpr
_ds_store_b64 v32, v[vgprValuC+34:vgprValuC+34+1], offset:2304 // 
v_accvgpr_read_b32 v[vgprValuC+34], acc6 // copy acc to vreg[12]
v_accvgpr_read_b32 v[vgprValuC+35], acc22 // copy acc to vreg[13]
s_nop 1                                            // 2 wait states required before reading vgpr
_ds_store_b64 v32, v[vgprValuC+34:vgprValuC+34+1], offset:2560 // 
v_accvgpr_read_b32 v[vgprValuC+34], acc7 // copy acc to vreg[14]
v_accvgpr_read_b32 v[vgprValuC+35], acc23 // copy acc to vreg[15]
s_nop 1                                            // 2 wait states required before reading vgpr
_ds_store_b64 v32, v[vgprValuC+34:vgprValuC+34+1], offset:2816 // 
v_accvgpr_read_b32 v[vgprValuC+34], acc8 // copy acc to vreg[16]
v_accvgpr_read_b32 v[vgprValuC+35], acc24 // copy acc to vreg[17]
s_nop 1                                            // 2 wait states required before reading vgpr
_ds_store_b64 v32, v[vgprValuC+34:vgprValuC+34+1], offset:4096 // 
v_accvgpr_read_b32 v[vgprValuC+34], acc9 // copy acc to vreg[18]
v_accvgpr_read_b32 v[vgprValuC+35], acc25 // copy acc to vreg[19]
s_nop 1                                            // 2 wait states required before reading vgpr
_ds_store_b64 v32, v[vgprValuC+34:vgprValuC+34+1], offset:4352 // 
v_accvgpr_read_b32 v[vgprValuC+34], acc10 // copy acc to vreg[20]
v_accvgpr_read_b32 v[vgprValuC+35], acc26 // copy acc to vreg[21]
s_nop 1                                            // 2 wait states required before reading vgpr
_ds_store_b64 v32, v[vgprValuC+34:vgprValuC+34+1], offset:4608 // 
v_accvgpr_read_b32 v[vgprValuC+34], acc11 // copy acc to vreg[22]
v_accvgpr_read_b32 v[vgprValuC+35], acc27 // copy acc to vreg[23]
s_nop 1                                            // 2 wait states required before reading vgpr
_ds_store_b64 v32, v[vgprValuC+34:vgprValuC+34+1], offset:4864 // 
v_accvgpr_read_b32 v[vgprValuC+34], acc12 // copy acc to vreg[24]
v_accvgpr_read_b32 v[vgprValuC+35], acc28 // copy acc to vreg[25]
s_nop 1                                            // 2 wait states required before reading vgpr
_ds_store_b64 v32, v[vgprValuC+34:vgprValuC+34+1], offset:6144 // 
v_accvgpr_read_b32 v[vgprValuC+34], acc13 // copy acc to vreg[26]
v_accvgpr_read_b32 v[vgprValuC+35], acc29 // copy acc to vreg[27]
s_nop 1                                            // 2 wait states required before reading vgpr
_ds_store_b64 v32, v[vgprValuC+34:vgprValuC+34+1], offset:6400 // 
v_accvgpr_read_b32 v[vgprValuC+34], acc14 // copy acc to vreg[28]
v_accvgpr_read_b32 v[vgprValuC+35], acc30 // copy acc to vreg[29]
s_nop 1                                            // 2 wait states required before reading vgpr
_ds_store_b64 v32, v[vgprValuC+34:vgprValuC+34+1], offset:6656 // 
v_accvgpr_read_b32 v[vgprValuC+34], acc15 // copy acc to vreg[30]
v_accvgpr_read_b32 v[vgprValuC+35], acc31 // copy acc to vreg[31]
s_nop 1                                            // 2 wait states required before reading vgpr
_ds_store_b64 v32, v[vgprValuC+34:vgprValuC+34+1], offset:6912 // 
s_waitcnt lgkmcnt(0)                               // wait for all writes
// Skip force waitcnt0
s_barrier //post-lsu local write


/* LocalSplitU: local read */

v_lshlrev_b32 v32, 0x3, v[vgprSerial]              // v32 = v[vgprSerial] * 8
_ds_load_b64 v[vgprValuC+0:vgprValuC+0+1], v32, offset:0 // r=0 i=0 s=0
_ds_load_b64 v[vgprValuC+2:vgprValuC+2+1], v32, offset:2048 // r=0 i=1 s=0
_ds_load_b64 v[vgprValuC+4:vgprValuC+4+1], v32, offset:4096 // r=0 i=2 s=0
_ds_load_b64 v[vgprValuC+6:vgprValuC+6+1], v32, offset:6144 // r=0 i=3 s=0
_ds_load_b64 v[vgprValuC+8:vgprValuC+8+1], v32, offset:8192 // r=0 i=4 s=0
_ds_load_b64 v[vgprValuC+10:vgprValuC+10+1], v32, offset:10240 // r=0 i=5 s=0
_ds_load_b64 v[vgprValuC+12:vgprValuC+12+1], v32, offset:12288 // r=0 i=6 s=0
_ds_load_b64 v[vgprValuC+14:vgprValuC+14+1], v32, offset:14336 // r=0 i=7 s=0
_ds_load_b64 v[vgprValuC+16:vgprValuC+16+1], v32, offset:16384 // r=1 i=0 s=0
_ds_load_b64 v[vgprValuC+18:vgprValuC+18+1], v32, offset:18432 // r=1 i=1 s=0
_ds_load_b64 v[vgprValuC+20:vgprValuC+20+1], v32, offset:20480 // r=1 i=2 s=0
_ds_load_b64 v[vgprValuC+22:vgprValuC+22+1], v32, offset:22528 // r=1 i=3 s=0
_ds_load_b64 v[vgprValuC+24:vgprValuC+24+1], v32, offset:24576 // r=1 i=4 s=0
_ds_load_b64 v[vgprValuC+26:vgprValuC+26+1], v32, offset:26624 // r=1 i=5 s=0
_ds_load_b64 v[vgprValuC+28:vgprValuC+28+1], v32, offset:28672 // r=1 i=6 s=0
_ds_load_b64 v[vgprValuC+30:vgprValuC+30+1], v32, offset:30720 // r=1 i=7 s=0
s_waitcnt lgkmcnt(0)                               // wait for all reads


/* LocalSplitU: reduction */

v_add_f32 v[vgprValuC+0], v[vgprValuC+16], v[vgprValuC+0] // c[0] += c[16]
v_add_f32 v[vgprValuC+1], v[vgprValuC+17], v[vgprValuC+1] // c[1] += c[17]
	;; [unrolled: 1-line block ×16, first 2 shown]


/* LocalSplitU: global write indices */

/* computeStoreVgprs */
v_lshrrev_b32 v33, 5, v[vgprSerial]                // v33 = v[vgprSerial] / 32
v_and_b32 v32, 31, v[vgprSerial]                   // v32 = v[vgprSerial] % 32
v_lshlrev_b32 v32, 0x1, v32                        // v32 = v32 * 2
v_mul_lo_u32 v34, v33, s[sgprStrideC1J]            // rowStart vgpr
v_mul_lo_u32 v35, v33, s[sgprStrideD1J]            // rowStart vgpr

s_mul_i32 s52, 0x40, s[sgprWorkGroup0]             // s52 = wg0*MT0
_v_add_co_u32 v32, vcc, s52, v32                   // coord0 = tid0*VW + wg0*MT0
s_mul_i32 s54, 0x40, s[sgprWorkGroup1]             // <- wg1*MT1
_v_add_co_u32 v33, vcc, s54, v33                   // coord1 = tid1*VW + wg1*MT1


/* LocalSplitU: global write */

s_cmpk_eq_u32 s[sgprBeta], 0x0                     // Beta == 0
s_cbranch_scc0 GW_Beta_130                         // Branch if Beta is not zero

s_and_b32 s52, 63, s[sgprSizeI]                    // s52 = s[sgprSizeI] % 64
s_add_u32 s53, -0x1, s[sgprNumWorkGroups0]         // 
s_cmp_ge_u32 s[sgprWorkGroup0], s53                // wg0 >= nwg0-1 ?
s_cselect_b32 s52, s52, 0                          // set rMT0
s_cmpk_gt_u32 s52, 0x0                             // rMT0 > 0
s_cbranch_scc1 GW_B0_E1_121                        // jump if edges required
s_and_b32 s52, 63, s[sgprSizeJ]                    // s52 = s[sgprSizeJ] % 64
s_add_u32 s53, -0x1, s[sgprNumWorkGroups1]         // 
s_cmp_ge_u32 s[sgprWorkGroup1], s53                // wg1 >= nwg1-1
s_cselect_b32 s52, s52, 0                          // set rMT1
s_cmpk_gt_u32 s52, 0x0                             // rMT1 > 0
s_cbranch_scc1 GW_B0_E1_121                        // jump if edges required
GW_B0_E0_118:

/* edge=0, allocate 2 sgpr. perBatchTmpS=2 perBatchMaskS=0 perElementMaskS=0 elementsPerBatch=8 */
/* optSingleColVgpr=1 optSharedColVgpr=0 optSGPRUsage=BufferLoad_Mask optSrdIncForRow=1 */
s_sleep 3 // optimization: sync and wait
s_barrier

/******************************************/
/* Global Write Alpha Batch #0 (d1,d0,vc1,vc0) = */
/*    (0,0,0,0:vw2); (1,0,0,0:vw2); (2,0,0,0:vw2); (3,0,0,0:vw2); (4,0,0,0:vw2); (5,0,0,0:vw2); (6,0,0,0:vw2); (7,0,0,0:vw2) */
/******************************************/

/* calc coords, apply mask, and issue loads (if necessary) */
/* (d1,vc1,d0,vc0)=(0,0,0,0) */
/* (d1,vc1,d0,vc0)=(1,0,0,0) */
	;; [unrolled: 1-line block ×8, first 2 shown]
_v_add_lshl_u32 v38, v35, v32, 0x1                 // optSingleColVgpr scaleToBpe: sharedAddrVgpr <- cinRowPtr + coord0, scaled by BPE. BSHERE:coord0=32, coord0Vgpr=32

/* rC *= alpha batchElements=[(0, 0, 0, 0), (1, 0, 0, 0), (2, 0, 0, 0), (3, 0, 0, 0), (4, 0, 0, 0), (5, 0, 0, 0), (6, 0, 0, 0), (7, 0, 0, 0)] */
v_mul_f32 v[vgprValuC+0], s[sgprAlpha], v[vgprValuC+0] // *= alpha
v_mul_f32 v[vgprValuC+1], s[sgprAlpha], v[vgprValuC+1] // *= alpha
	;; [unrolled: 1-line block ×16, first 2 shown]

/* apply mask, calc new C and issue writes */
v_cvt_f16_f32 v[vgprValuC+0], v[vgprValuC+0]       // convert C to fp16
v_cvt_f16_f32 v[vgprValuC+1], v[vgprValuC+1]       // convert C to fp16
v_pack_b32_f16 v0, v[vgprValuC+0], v[vgprValuC+1]  // Pack with neighbor
v_cvt_f16_f32 v[vgprValuC+2], v[vgprValuC+2]       // convert C to fp16
v_cvt_f16_f32 v[vgprValuC+3], v[vgprValuC+3]       // convert C to fp16
v_pack_b32_f16 v2, v[vgprValuC+2], v[vgprValuC+3]  // Pack with neighbor
	;; [unrolled: 3-line block ×5, first 2 shown]
v_cvt_f16_f32 v[vgprValuC+10], v[vgprValuC+10]     // convert C to fp16
v_cvt_f16_f32 v[vgprValuC+11], v[vgprValuC+11]     // convert C to fp16
v_pack_b32_f16 v10, v[vgprValuC+10], v[vgprValuC+11] // Pack with neighbor
v_cvt_f16_f32 v[vgprValuC+12], v[vgprValuC+12]     // convert C to fp16
v_cvt_f16_f32 v[vgprValuC+13], v[vgprValuC+13]     // convert C to fp16
v_pack_b32_f16 v12, v[vgprValuC+12], v[vgprValuC+13] // Pack with neighbor
	;; [unrolled: 3-line block ×3, first 2 shown]
_buffer_store_b32 v0, v38, s[sgprSrdD:sgprSrdD+3], 0, offen, offset:0 // store D
s_mul_i32 s34, s[sgprStrideD1J], 16                // scale StrideD *= numRows(8) * bpe
s_add_u32  s[sgprSrdD+0], s[sgprSrdD+0], s34       // incToNextRow: gra SRD += inc(lower)
s_addc_u32  s[sgprSrdD+1], s[sgprSrdD+1], 0        // incToNextRow: gra SRD += inc(upper)
_buffer_store_b32 v2, v38, s[sgprSrdD:sgprSrdD+3], 0, offen, offset:0 // store D
s_mul_i32 s34, s[sgprStrideD1J], 16                // scale StrideD *= numRows(8) * bpe
s_add_u32  s[sgprSrdD+0], s[sgprSrdD+0], s34       // incToNextRow: gra SRD += inc(lower)
s_addc_u32  s[sgprSrdD+1], s[sgprSrdD+1], 0        // incToNextRow: gra SRD += inc(upper)
	;; [unrolled: 4-line block ×7, first 2 shown]
_buffer_store_b32 v14, v38, s[sgprSrdD:sgprSrdD+3], 0, offen, offset:0 // store D
s_branch label_GW_End_129                          // jump to end
GW_B0_E1_121:

/* edge=1, allocate 6 sgpr. perBatchTmpS=4 perBatchMaskS=2 perElementMaskS=0 elementsPerBatch=16 */
/* optSingleColVgpr=0 optSharedColVgpr=0 optSGPRUsage=BufferLoad_Edge_Mask optSrdIncForRow=0 */
s_sleep 3 // optimization: sync and wait
s_barrier

/******************************************/
/* Global Write Alpha Edge Batch #0 (d1,d0,vc1,vc0) = */
/*    (0,0,0,0:vw1); (0,0,0,1:vw1); (1,0,0,0:vw1); (1,0,0,1:vw1); (2,0,0,0:vw1); (2,0,0,1:vw1); (3,0,0,0:vw1); (3,0,0,1:vw1); (4,0,0,0:vw1); (4,0,0,1:vw1); (5,0,0,0:vw1); (5,0,0,1:vw1); (6,0,0,0:vw1); (6,0,0,1:vw1); (7,0,0,0:vw1); (7,0,0,1:vw1) */
/******************************************/

/* calc coords, apply mask, and issue loads (if necessary) */
/* (d1,vc1,d0,vc0)=(0,0,0,0) */
v_cmp_lt_u32 s[52:53], v32, s[sgprSizeI]           // coord0 < size0
v_cmp_lt_u32 s[56:57], v33, s[sgprSizeJ]           // coord1 < size1
s_and_b64 s[56:57], s[52:53], s[56:57]             // in0 && in1
_v_add_lshl_u32 v38, v35, v32, 0x1                 // scaleToBpe: accumulate d0 lower and *= bpe into Cin addr
v_cndmask_b32 v38, -1, v38, s[56:57]               // LDD clip if OOB. offset
/* (d1,vc1,d0,vc0)=(0,0,0,1) */
_v_add_co_u32 v36, vcc, v32, 1                     // coord0.1: coord0 += d0*sg0*VW + vc0
v_cmp_lt_u32 s[52:53], v36, s[sgprSizeI]           // coord0 < size0
v_cmp_lt_u32 s[56:57], v33, s[sgprSizeJ]           // coord1 < size1
s_and_b64 s[56:57], s[52:53], s[56:57]             // in0 && in1
_v_add_lshl_u32 v40, v35, v36, 0x1                 // scaleToBpe: accumulate d0 lower and *= bpe into Cin addr
v_cndmask_b32 v40, -1, v40, s[56:57]               // LDD clip if OOB. offset
/* (d1,vc1,d0,vc0)=(1,0,0,0) */
_v_add_co_u32 v33, vcc, v33, 8                     // coord1.1: coord1Vgpr += d1*sg1*VW + vc1

/* Fix for UseInitialStridesCD, emitAddressSetupCode */
s_mul_i32 s52, s[sgprStrideC1J], 8                 // scale stride
_v_add_u32 v34, v34, s52                           // ROWINC- Move cinRowPtr to next row
s_mul_i32 s52, s[sgprStrideD1J], 8                 // scale stride
_v_add_u32 v35, v35, s52                           // Move coutRowPtr to next row
v_cmp_lt_u32 s[52:53], v32, s[sgprSizeI]           // coord0 < size0
v_cmp_lt_u32 s[56:57], v33, s[sgprSizeJ]           // coord1 < size1
s_and_b64 s[56:57], s[52:53], s[56:57]             // in0 && in1
_v_add_lshl_u32 v42, v35, v32, 0x1                 // scaleToBpe: accumulate d0 lower and *= bpe into Cin addr
v_cndmask_b32 v42, -1, v42, s[56:57]               // LDD clip if OOB. offset
/* (d1,vc1,d0,vc0)=(1,0,0,1) */
_v_add_co_u32 v36, vcc, v32, 1                     // coord0.1: coord0 += d0*sg0*VW + vc0
v_cmp_lt_u32 s[52:53], v36, s[sgprSizeI]           // coord0 < size0
v_cmp_lt_u32 s[56:57], v33, s[sgprSizeJ]           // coord1 < size1
s_and_b64 s[56:57], s[52:53], s[56:57]             // in0 && in1
_v_add_lshl_u32 v44, v35, v36, 0x1                 // scaleToBpe: accumulate d0 lower and *= bpe into Cin addr
v_cndmask_b32 v44, -1, v44, s[56:57]               // LDD clip if OOB. offset
/* (d1,vc1,d0,vc0)=(2,0,0,0) */
_v_add_co_u32 v33, vcc, v33, 8                     // coord1.1: coord1Vgpr += d1*sg1*VW + vc1

/* Fix for UseInitialStridesCD, emitAddressSetupCode */
s_mul_i32 s52, s[sgprStrideC1J], 8                 // scale stride
_v_add_u32 v34, v34, s52                           // ROWINC- Move cinRowPtr to next row
s_mul_i32 s52, s[sgprStrideD1J], 8                 // scale stride
_v_add_u32 v35, v35, s52                           // Move coutRowPtr to next row
	;; [unrolled: 20-line block ×7, first 2 shown]
v_cmp_lt_u32 s[52:53], v32, s[sgprSizeI]           // coord0 < size0
v_cmp_lt_u32 s[56:57], v33, s[sgprSizeJ]           // coord1 < size1
s_and_b64 s[56:57], s[52:53], s[56:57]             // in0 && in1
_v_add_lshl_u32 v66, v35, v32, 0x1                 // scaleToBpe: accumulate d0 lower and *= bpe into Cin addr
v_cndmask_b32 v66, -1, v66, s[56:57]               // LDD clip if OOB. offset
/* (d1,vc1,d0,vc0)=(7,0,0,1) */
_v_add_co_u32 v36, vcc, v32, 1                     // coord0.1: coord0 += d0*sg0*VW + vc0
v_cmp_lt_u32 s[52:53], v36, s[sgprSizeI]           // coord0 < size0
v_cmp_lt_u32 s[56:57], v33, s[sgprSizeJ]           // coord1 < size1
s_and_b64 s[56:57], s[52:53], s[56:57]             // in0 && in1
_v_add_lshl_u32 v68, v35, v36, 0x1                 // scaleToBpe: accumulate d0 lower and *= bpe into Cin addr
v_cndmask_b32 v68, -1, v68, s[56:57]               // LDD clip if OOB. offset

/* rC *= alpha batchElements=[(0, 0, 0, 0), (0, 0, 0, 1), (1, 0, 0, 0), (1, 0, 0, 1), (2, 0, 0, 0), (2, 0, 0, 1), (3, 0, 0, 0), (3, 0, 0, 1), (4, 0, 0, 0), (4, 0, 0, 1), (5, 0, 0, 0), (5, 0, 0, 1), (6, 0, 0, 0), (6, 0, 0, 1), (7, 0, 0, 0), (7, 0, 0, 1)] */
v_mul_f32 v[vgprValuC+0], s[sgprAlpha], v[vgprValuC+0] // *= alpha
v_mul_f32 v[vgprValuC+1], s[sgprAlpha], v[vgprValuC+1] // *= alpha
	;; [unrolled: 1-line block ×16, first 2 shown]

/* apply mask, calc new C and issue writes */
v_cvt_f16_f32 v[vgprValuC+0], v[vgprValuC+0]       // convert C to fp16
v_cvt_f16_f32 v[vgprValuC+1], v[vgprValuC+1]       // convert C to fp16
v_cvt_f16_f32 v[vgprValuC+2], v[vgprValuC+2]       // convert C to fp16
v_cvt_f16_f32 v[vgprValuC+3], v[vgprValuC+3]       // convert C to fp16
v_cvt_f16_f32 v[vgprValuC+4], v[vgprValuC+4]       // convert C to fp16
v_cvt_f16_f32 v[vgprValuC+5], v[vgprValuC+5]       // convert C to fp16
v_cvt_f16_f32 v[vgprValuC+6], v[vgprValuC+6]       // convert C to fp16
v_cvt_f16_f32 v[vgprValuC+7], v[vgprValuC+7]       // convert C to fp16
v_cvt_f16_f32 v[vgprValuC+8], v[vgprValuC+8]       // convert C to fp16
v_cvt_f16_f32 v[vgprValuC+9], v[vgprValuC+9]       // convert C to fp16
v_cvt_f16_f32 v[vgprValuC+10], v[vgprValuC+10]     // convert C to fp16
v_cvt_f16_f32 v[vgprValuC+11], v[vgprValuC+11]     // convert C to fp16
	;; [unrolled: 1-line block ×6, first 2 shown]
_buffer_store_b16 v0, v38, s[sgprSrdD:sgprSrdD+3], 0, offen, offset:0 // store D
_buffer_store_b16 v1, v40, s[sgprSrdD:sgprSrdD+3], 0, offen, offset:0 // store D
_buffer_store_b16 v2, v42, s[sgprSrdD:sgprSrdD+3], 0, offen, offset:0 // store D
_buffer_store_b16 v3, v44, s[sgprSrdD:sgprSrdD+3], 0, offen, offset:0 // store D
_buffer_store_b16 v4, v46, s[sgprSrdD:sgprSrdD+3], 0, offen, offset:0 // store D
_buffer_store_b16 v5, v48, s[sgprSrdD:sgprSrdD+3], 0, offen, offset:0 // store D
_buffer_store_b16 v6, v50, s[sgprSrdD:sgprSrdD+3], 0, offen, offset:0 // store D
_buffer_store_b16 v7, v52, s[sgprSrdD:sgprSrdD+3], 0, offen, offset:0 // store D
_buffer_store_b16 v8, v54, s[sgprSrdD:sgprSrdD+3], 0, offen, offset:0 // store D
_buffer_store_b16 v9, v56, s[sgprSrdD:sgprSrdD+3], 0, offen, offset:0 // store D
_buffer_store_b16 v10, v58, s[sgprSrdD:sgprSrdD+3], 0, offen, offset:0 // store D
_buffer_store_b16 v11, v60, s[sgprSrdD:sgprSrdD+3], 0, offen, offset:0 // store D
_buffer_store_b16 v12, v62, s[sgprSrdD:sgprSrdD+3], 0, offen, offset:0 // store D
_buffer_store_b16 v13, v64, s[sgprSrdD:sgprSrdD+3], 0, offen, offset:0 // store D
_buffer_store_b16 v14, v66, s[sgprSrdD:sgprSrdD+3], 0, offen, offset:0 // store D
_buffer_store_b16 v15, v68, s[sgprSrdD:sgprSrdD+3], 0, offen, offset:0 // store D
s_branch label_GW_End_129                          // jump to end
GW_Beta_130:
s_and_b32 s52, 63, s[sgprSizeI]                    // s52 = s[sgprSizeI] % 64
s_add_u32 s53, -0x1, s[sgprNumWorkGroups0]         // 
s_cmp_ge_u32 s[sgprWorkGroup0], s53                // wg0 >= nwg0-1 ?
s_cselect_b32 s52, s52, 0                          // set rMT0
s_cmpk_gt_u32 s52, 0x0                             // rMT0 > 0
s_cbranch_scc1 GW_B1_E1_128                        // jump if edges required
s_and_b32 s52, 63, s[sgprSizeJ]                    // s52 = s[sgprSizeJ] % 64
s_add_u32 s53, -0x1, s[sgprNumWorkGroups1]         // 
s_cmp_ge_u32 s[sgprWorkGroup1], s53                // wg1 >= nwg1-1
s_cselect_b32 s52, s52, 0                          // set rMT1
s_cmpk_gt_u32 s52, 0x0                             // rMT1 > 0
s_cbranch_scc1 GW_B1_E1_128                        // jump if edges required
GW_B1_E0_125:

/* edge=0, allocate 2 sgpr. perBatchTmpS=2 perBatchMaskS=0 perElementMaskS=0 elementsPerBatch=16 */
/* optSingleColVgpr=1 optSharedColVgpr=0 optSGPRUsage=BufferLoad_Mask optSrdIncForRow=1 */
s_sleep 3 // optimization: sync and wait
s_barrier

/******************************************/
/* Global Write Alpha Beta Batch #0 (d1,d0,vc1,vc0) = */
/*    (0,0,0,0:vw2); (1,0,0,0:vw2); (2,0,0,0:vw2); (3,0,0,0:vw2); (4,0,0,0:vw2); (5,0,0,0:vw2); (6,0,0,0:vw2); (7,0,0,0:vw2) */
/******************************************/

/* calc coords, apply mask, and issue loads (if necessary) */
/* (d1,vc1,d0,vc0)=(0,0,0,0) */
_v_add_lshl_u32 v39, v34, v32, 0x1                 // optSingleColVgpr scaleToBpe: sharedAddrVgpr <- cinRowPtr + coord0, scaled by BPE. BSHERE:coord0=32, coord0Vgpr=32
/* (d1,vc1,d0,vc0)=(1,0,0,0) */
/* (d1,vc1,d0,vc0)=(2,0,0,0) */
/* (d1,vc1,d0,vc0)=(3,0,0,0) */
/* (d1,vc1,d0,vc0)=(4,0,0,0) */
/* (d1,vc1,d0,vc0)=(5,0,0,0) */
/* (d1,vc1,d0,vc0)=(6,0,0,0) */
/* (d1,vc1,d0,vc0)=(7,0,0,0) */
_v_add_lshl_u32 v38, v35, v32, 0x1                 // optSingleColVgpr scaleToBpe: sharedAddrVgpr <- cinRowPtr + coord0, scaled by BPE. BSHERE:coord0=32, coord0Vgpr=32
_buffer_load_b32 v40, v39, s[sgprSrdC:sgprSrdC+3], 0, offen offset:0 // load C for beta calc
s_mul_i32 s34, s[sgprStrideC1J], 16                // scale StrideC *= numRows(8) * bpe
s_add_u32  s[sgprSrdC+0], s[sgprSrdC+0], s34       // incToNextRow: gra SRD += inc(lower)
s_addc_u32  s[sgprSrdC+1], s[sgprSrdC+1], 0        // incToNextRow: gra SRD += inc(upper)
_buffer_load_b32 v41, v39, s[sgprSrdC:sgprSrdC+3], 0, offen offset:0 // load C for beta calc
s_mul_i32 s34, s[sgprStrideC1J], 16                // scale StrideC *= numRows(8) * bpe
s_add_u32  s[sgprSrdC+0], s[sgprSrdC+0], s34       // incToNextRow: gra SRD += inc(lower)
s_addc_u32  s[sgprSrdC+1], s[sgprSrdC+1], 0        // incToNextRow: gra SRD += inc(upper)
_buffer_load_b32 v42, v39, s[sgprSrdC:sgprSrdC+3], 0, offen offset:0 // load C for beta calc
s_mul_i32 s34, s[sgprStrideC1J], 16                // scale StrideC *= numRows(8) * bpe
s_add_u32  s[sgprSrdC+0], s[sgprSrdC+0], s34       // incToNextRow: gra SRD += inc(lower)
s_addc_u32  s[sgprSrdC+1], s[sgprSrdC+1], 0        // incToNextRow: gra SRD += inc(upper)
_buffer_load_b32 v43, v39, s[sgprSrdC:sgprSrdC+3], 0, offen offset:0 // load C for beta calc
s_mul_i32 s34, s[sgprStrideC1J], 16                // scale StrideC *= numRows(8) * bpe
s_add_u32  s[sgprSrdC+0], s[sgprSrdC+0], s34       // incToNextRow: gra SRD += inc(lower)
s_addc_u32  s[sgprSrdC+1], s[sgprSrdC+1], 0        // incToNextRow: gra SRD += inc(upper)
_buffer_load_b32 v44, v39, s[sgprSrdC:sgprSrdC+3], 0, offen offset:0 // load C for beta calc
s_mul_i32 s34, s[sgprStrideC1J], 16                // scale StrideC *= numRows(8) * bpe
s_add_u32  s[sgprSrdC+0], s[sgprSrdC+0], s34       // incToNextRow: gra SRD += inc(lower)
s_addc_u32  s[sgprSrdC+1], s[sgprSrdC+1], 0        // incToNextRow: gra SRD += inc(upper)
_buffer_load_b32 v45, v39, s[sgprSrdC:sgprSrdC+3], 0, offen offset:0 // load C for beta calc
s_mul_i32 s34, s[sgprStrideC1J], 16                // scale StrideC *= numRows(8) * bpe
s_add_u32  s[sgprSrdC+0], s[sgprSrdC+0], s34       // incToNextRow: gra SRD += inc(lower)
s_addc_u32  s[sgprSrdC+1], s[sgprSrdC+1], 0        // incToNextRow: gra SRD += inc(upper)
_buffer_load_b32 v46, v39, s[sgprSrdC:sgprSrdC+3], 0, offen offset:0 // load C for beta calc
s_mul_i32 s34, s[sgprStrideC1J], 16                // scale StrideC *= numRows(8) * bpe
s_add_u32  s[sgprSrdC+0], s[sgprSrdC+0], s34       // incToNextRow: gra SRD += inc(lower)
s_addc_u32  s[sgprSrdC+1], s[sgprSrdC+1], 0        // incToNextRow: gra SRD += inc(upper)
_buffer_load_b32 v47, v39, s[sgprSrdC:sgprSrdC+3], 0, offen offset:0 // load C for beta calc
s_sleep 3 // optimization: sync and wait
s_barrier

/* rC *= alpha batchElements=[(0, 0, 0, 0), (1, 0, 0, 0), (2, 0, 0, 0), (3, 0, 0, 0), (4, 0, 0, 0), (5, 0, 0, 0), (6, 0, 0, 0), (7, 0, 0, 0)] */
v_mul_f32 v[vgprValuC+0], s[sgprAlpha], v[vgprValuC+0] // *= alpha
v_mul_f32 v[vgprValuC+1], s[sgprAlpha], v[vgprValuC+1] // *= alpha
	;; [unrolled: 1-line block ×16, first 2 shown]
s_waitcnt vmcnt(0)                                 // wait C

/* apply mask, calc new C and issue writes */
v_fma_mix_f32 v[vgprValuC+0], s[sgprBeta], v40, v[vgprValuC+0], op_sel:[0,0,0] op_sel_hi:[0,1,0] // //C*=beta
v_fma_mix_f32 v[vgprValuC+1], s[sgprBeta], v40, v[vgprValuC+1], op_sel:[0,1,0] op_sel_hi:[0,1,0] // //C*=beta
v_cvt_f16_f32 v[vgprValuC+0], v[vgprValuC+0]       // convert C to fp16
v_cvt_f16_f32 v[vgprValuC+1], v[vgprValuC+1]       // convert C to fp16
v_pack_b32_f16 v0, v[vgprValuC+0], v[vgprValuC+1]  // Pack with neighbor
v_fma_mix_f32 v[vgprValuC+2], s[sgprBeta], v41, v[vgprValuC+2], op_sel:[0,0,0] op_sel_hi:[0,1,0] // //C*=beta
v_fma_mix_f32 v[vgprValuC+3], s[sgprBeta], v41, v[vgprValuC+3], op_sel:[0,1,0] op_sel_hi:[0,1,0] // //C*=beta
v_cvt_f16_f32 v[vgprValuC+2], v[vgprValuC+2]       // convert C to fp16
v_cvt_f16_f32 v[vgprValuC+3], v[vgprValuC+3]       // convert C to fp16
v_pack_b32_f16 v2, v[vgprValuC+2], v[vgprValuC+3]  // Pack with neighbor
	;; [unrolled: 5-line block ×5, first 2 shown]
v_fma_mix_f32 v[vgprValuC+10], s[sgprBeta], v45, v[vgprValuC+10], op_sel:[0,0,0] op_sel_hi:[0,1,0] // //C*=beta
v_fma_mix_f32 v[vgprValuC+11], s[sgprBeta], v45, v[vgprValuC+11], op_sel:[0,1,0] op_sel_hi:[0,1,0] // //C*=beta
v_cvt_f16_f32 v[vgprValuC+10], v[vgprValuC+10]     // convert C to fp16
v_cvt_f16_f32 v[vgprValuC+11], v[vgprValuC+11]     // convert C to fp16
v_pack_b32_f16 v10, v[vgprValuC+10], v[vgprValuC+11] // Pack with neighbor
v_fma_mix_f32 v[vgprValuC+12], s[sgprBeta], v46, v[vgprValuC+12], op_sel:[0,0,0] op_sel_hi:[0,1,0] // //C*=beta
v_fma_mix_f32 v[vgprValuC+13], s[sgprBeta], v46, v[vgprValuC+13], op_sel:[0,1,0] op_sel_hi:[0,1,0] // //C*=beta
v_cvt_f16_f32 v[vgprValuC+12], v[vgprValuC+12]     // convert C to fp16
v_cvt_f16_f32 v[vgprValuC+13], v[vgprValuC+13]     // convert C to fp16
v_pack_b32_f16 v12, v[vgprValuC+12], v[vgprValuC+13] // Pack with neighbor
	;; [unrolled: 5-line block ×3, first 2 shown]
_buffer_store_b32 v0, v38, s[sgprSrdD:sgprSrdD+3], 0, offen, offset:0 // store D
s_mul_i32 s34, s[sgprStrideD1J], 16                // scale StrideD *= numRows(8) * bpe
s_add_u32  s[sgprSrdD+0], s[sgprSrdD+0], s34       // incToNextRow: gra SRD += inc(lower)
s_addc_u32  s[sgprSrdD+1], s[sgprSrdD+1], 0        // incToNextRow: gra SRD += inc(upper)
_buffer_store_b32 v2, v38, s[sgprSrdD:sgprSrdD+3], 0, offen, offset:0 // store D
s_mul_i32 s34, s[sgprStrideD1J], 16                // scale StrideD *= numRows(8) * bpe
s_add_u32  s[sgprSrdD+0], s[sgprSrdD+0], s34       // incToNextRow: gra SRD += inc(lower)
s_addc_u32  s[sgprSrdD+1], s[sgprSrdD+1], 0        // incToNextRow: gra SRD += inc(upper)
	;; [unrolled: 4-line block ×7, first 2 shown]
_buffer_store_b32 v14, v38, s[sgprSrdD:sgprSrdD+3], 0, offen, offset:0 // store D
s_branch label_GW_End_129                          // jump to end
GW_B1_E1_128:

/* edge=1, allocate 6 sgpr. perBatchTmpS=4 perBatchMaskS=2 perElementMaskS=0 elementsPerBatch=16 */
/* optSingleColVgpr=0 optSharedColVgpr=0 optSGPRUsage=BufferLoad_Edge_Mask optSrdIncForRow=0 */
s_sleep 3 // optimization: sync and wait
s_barrier

/******************************************/
/* Global Write Alpha Beta Edge Batch #0 (d1,d0,vc1,vc0) = */
/*    (0,0,0,0:vw1); (0,0,0,1:vw1); (1,0,0,0:vw1); (1,0,0,1:vw1); (2,0,0,0:vw1); (2,0,0,1:vw1); (3,0,0,0:vw1); (3,0,0,1:vw1); (4,0,0,0:vw1); (4,0,0,1:vw1); (5,0,0,0:vw1); (5,0,0,1:vw1); (6,0,0,0:vw1); (6,0,0,1:vw1); (7,0,0,0:vw1); (7,0,0,1:vw1) */
/******************************************/

/* calc coords, apply mask, and issue loads (if necessary) */
/* (d1,vc1,d0,vc0)=(0,0,0,0) */
v_cmp_lt_u32 s[52:53], v32, s[sgprSizeI]           // coord0 < size0
v_cmp_lt_u32 s[56:57], v33, s[sgprSizeJ]           // coord1 < size1
s_and_b64 s[56:57], s[52:53], s[56:57]             // in0 && in1
_v_add_lshl_u32 v39, v34, v32, 0x1                 // scaleToBpe: accumulate d0 lower and *= bpe into Cin addr
v_cndmask_b32 v39, -1, v39, s[56:57]               // LDC clip if OOB. offset
_v_add_lshl_u32 v38, v35, v32, 0x1                 // scaleToBpe: accumulate d0 lower and *= bpe into Cin addr
v_cndmask_b32 v38, -1, v38, s[56:57]               // LDD clip if OOB. offset
/* (d1,vc1,d0,vc0)=(0,0,0,1) */
_v_add_co_u32 v36, vcc, v32, 1                     // coord0.1: coord0 += d0*sg0*VW + vc0
v_cmp_lt_u32 s[52:53], v36, s[sgprSizeI]           // coord0 < size0
v_cmp_lt_u32 s[56:57], v33, s[sgprSizeJ]           // coord1 < size1
s_and_b64 s[56:57], s[52:53], s[56:57]             // in0 && in1
_v_add_lshl_u32 v42, v34, v36, 0x1                 // scaleToBpe: accumulate d0 lower and *= bpe into Cin addr
v_cndmask_b32 v42, -1, v42, s[56:57]               // LDC clip if OOB. offset
_v_add_lshl_u32 v41, v35, v36, 0x1                 // scaleToBpe: accumulate d0 lower and *= bpe into Cin addr
v_cndmask_b32 v41, -1, v41, s[56:57]               // LDD clip if OOB. offset
/* (d1,vc1,d0,vc0)=(1,0,0,0) */
_v_add_co_u32 v33, vcc, v33, 8                     // coord1.1: coord1Vgpr += d1*sg1*VW + vc1

/* Fix for UseInitialStridesCD, emitAddressSetupCode */
s_mul_i32 s52, s[sgprStrideC1J], 8                 // scale stride
_v_add_u32 v34, v34, s52                           // ROWINC- Move cinRowPtr to next row
s_mul_i32 s52, s[sgprStrideD1J], 8                 // scale stride
_v_add_u32 v35, v35, s52                           // Move coutRowPtr to next row
v_cmp_lt_u32 s[52:53], v32, s[sgprSizeI]           // coord0 < size0
v_cmp_lt_u32 s[56:57], v33, s[sgprSizeJ]           // coord1 < size1
s_and_b64 s[56:57], s[52:53], s[56:57]             // in0 && in1
_v_add_lshl_u32 v45, v34, v32, 0x1                 // scaleToBpe: accumulate d0 lower and *= bpe into Cin addr
v_cndmask_b32 v45, -1, v45, s[56:57]               // LDC clip if OOB. offset
_v_add_lshl_u32 v44, v35, v32, 0x1                 // scaleToBpe: accumulate d0 lower and *= bpe into Cin addr
v_cndmask_b32 v44, -1, v44, s[56:57]               // LDD clip if OOB. offset
/* (d1,vc1,d0,vc0)=(1,0,0,1) */
_v_add_co_u32 v36, vcc, v32, 1                     // coord0.1: coord0 += d0*sg0*VW + vc0
v_cmp_lt_u32 s[52:53], v36, s[sgprSizeI]           // coord0 < size0
v_cmp_lt_u32 s[56:57], v33, s[sgprSizeJ]           // coord1 < size1
s_and_b64 s[56:57], s[52:53], s[56:57]             // in0 && in1
_v_add_lshl_u32 v48, v34, v36, 0x1                 // scaleToBpe: accumulate d0 lower and *= bpe into Cin addr
v_cndmask_b32 v48, -1, v48, s[56:57]               // LDC clip if OOB. offset
_v_add_lshl_u32 v47, v35, v36, 0x1                 // scaleToBpe: accumulate d0 lower and *= bpe into Cin addr
v_cndmask_b32 v47, -1, v47, s[56:57]               // LDD clip if OOB. offset
/* (d1,vc1,d0,vc0)=(2,0,0,0) */
_v_add_co_u32 v33, vcc, v33, 8                     // coord1.1: coord1Vgpr += d1*sg1*VW + vc1

/* Fix for UseInitialStridesCD, emitAddressSetupCode */
s_mul_i32 s52, s[sgprStrideC1J], 8                 // scale stride
_v_add_u32 v34, v34, s52                           // ROWINC- Move cinRowPtr to next row
s_mul_i32 s52, s[sgprStrideD1J], 8                 // scale stride
_v_add_u32 v35, v35, s52                           // Move coutRowPtr to next row
	;; [unrolled: 24-line block ×7, first 2 shown]
v_cmp_lt_u32 s[52:53], v32, s[sgprSizeI]           // coord0 < size0
v_cmp_lt_u32 s[56:57], v33, s[sgprSizeJ]           // coord1 < size1
s_and_b64 s[56:57], s[52:53], s[56:57]             // in0 && in1
_v_add_lshl_u32 v81, v34, v32, 0x1                 // scaleToBpe: accumulate d0 lower and *= bpe into Cin addr
v_cndmask_b32 v81, -1, v81, s[56:57]               // LDC clip if OOB. offset
_v_add_lshl_u32 v80, v35, v32, 0x1                 // scaleToBpe: accumulate d0 lower and *= bpe into Cin addr
v_cndmask_b32 v80, -1, v80, s[56:57]               // LDD clip if OOB. offset
/* (d1,vc1,d0,vc0)=(7,0,0,1) */
_v_add_co_u32 v36, vcc, v32, 1                     // coord0.1: coord0 += d0*sg0*VW + vc0
v_cmp_lt_u32 s[52:53], v36, s[sgprSizeI]           // coord0 < size0
v_cmp_lt_u32 s[56:57], v33, s[sgprSizeJ]           // coord1 < size1
s_and_b64 s[56:57], s[52:53], s[56:57]             // in0 && in1
_v_add_lshl_u32 v84, v34, v36, 0x1                 // scaleToBpe: accumulate d0 lower and *= bpe into Cin addr
v_cndmask_b32 v84, -1, v84, s[56:57]               // LDC clip if OOB. offset
_v_add_lshl_u32 v83, v35, v36, 0x1                 // scaleToBpe: accumulate d0 lower and *= bpe into Cin addr
v_cndmask_b32 v83, -1, v83, s[56:57]               // LDD clip if OOB. offset
_buffer_load_d16_b16 v40, v39, s[sgprSrdC:sgprSrdC+3], 0, offen offset:0 // load C for beta calc
_buffer_load_d16_hi_b16 v43, v42, s[sgprSrdC:sgprSrdC+3], 0, offen offset:0 // load C for beta calc
_buffer_load_d16_b16 v46, v45, s[sgprSrdC:sgprSrdC+3], 0, offen offset:0 // load C for beta calc
_buffer_load_d16_hi_b16 v49, v48, s[sgprSrdC:sgprSrdC+3], 0, offen offset:0 // load C for beta calc
	;; [unrolled: 2-line block ×8, first 2 shown]
s_sleep 3 // optimization: sync and wait
s_barrier

/* rC *= alpha batchElements=[(0, 0, 0, 0), (0, 0, 0, 1), (1, 0, 0, 0), (1, 0, 0, 1), (2, 0, 0, 0), (2, 0, 0, 1), (3, 0, 0, 0), (3, 0, 0, 1), (4, 0, 0, 0), (4, 0, 0, 1), (5, 0, 0, 0), (5, 0, 0, 1), (6, 0, 0, 0), (6, 0, 0, 1), (7, 0, 0, 0), (7, 0, 0, 1)] */
v_mul_f32 v[vgprValuC+0], s[sgprAlpha], v[vgprValuC+0] // *= alpha
v_mul_f32 v[vgprValuC+1], s[sgprAlpha], v[vgprValuC+1] // *= alpha
	;; [unrolled: 1-line block ×16, first 2 shown]
s_waitcnt vmcnt(0)                                 // wait C

/* apply mask, calc new C and issue writes */
v_fma_mix_f32 v[vgprValuC+0], s[sgprBeta], v40, v[vgprValuC+0], op_sel:[0,0,0] op_sel_hi:[0,1,0] // //C*=beta
v_cvt_f16_f32 v[vgprValuC+0], v[vgprValuC+0]       // convert C to fp16
v_fma_mix_f32 v[vgprValuC+1], s[sgprBeta], v43, v[vgprValuC+1], op_sel:[0,1,0] op_sel_hi:[0,1,0] // //C*=beta
v_cvt_f16_f32 v[vgprValuC+1], v[vgprValuC+1]       // convert C to fp16
	;; [unrolled: 2-line block ×10, first 2 shown]
v_fma_mix_f32 v[vgprValuC+10], s[sgprBeta], v70, v[vgprValuC+10], op_sel:[0,0,0] op_sel_hi:[0,1,0] // //C*=beta
v_cvt_f16_f32 v[vgprValuC+10], v[vgprValuC+10]     // convert C to fp16
v_fma_mix_f32 v[vgprValuC+11], s[sgprBeta], v73, v[vgprValuC+11], op_sel:[0,1,0] op_sel_hi:[0,1,0] // //C*=beta
v_cvt_f16_f32 v[vgprValuC+11], v[vgprValuC+11]     // convert C to fp16
	;; [unrolled: 2-line block ×6, first 2 shown]
_buffer_store_b16 v0, v38, s[sgprSrdD:sgprSrdD+3], 0, offen, offset:0 // store D
_buffer_store_b16 v1, v41, s[sgprSrdD:sgprSrdD+3], 0, offen, offset:0 // store D
	;; [unrolled: 1-line block ×16, first 2 shown]
s_branch label_GW_End_129                          // jump to end
label_GW_End_129:

label_0134:  /// KernelEnd
s_endpgm                                           // Kernel End

